;; amdgpu-corpus repo=ROCm/rocFFT kind=compiled arch=gfx950 opt=O3
	.text
	.amdgcn_target "amdgcn-amd-amdhsa--gfx950"
	.amdhsa_code_object_version 6
	.protected	bluestein_single_back_len3600_dim1_dp_op_CI_CI ; -- Begin function bluestein_single_back_len3600_dim1_dp_op_CI_CI
	.globl	bluestein_single_back_len3600_dim1_dp_op_CI_CI
	.p2align	8
	.type	bluestein_single_back_len3600_dim1_dp_op_CI_CI,@function
bluestein_single_back_len3600_dim1_dp_op_CI_CI: ; @bluestein_single_back_len3600_dim1_dp_op_CI_CI
; %bb.0:
	s_load_dwordx4 s[12:15], s[0:1], 0x28
	v_mul_u32_u24_e32 v1, 0x223, v0
	v_add_u32_sdwa v244, s2, v1 dst_sel:DWORD dst_unused:UNUSED_PAD src0_sel:DWORD src1_sel:WORD_1
	v_mov_b32_e32 v245, 0
	s_waitcnt lgkmcnt(0)
	v_cmp_gt_u64_e32 vcc, s[12:13], v[244:245]
	s_and_saveexec_b64 s[2:3], vcc
	s_cbranch_execz .LBB0_2
; %bb.1:
	s_load_dwordx4 s[4:7], s[0:1], 0x0
	s_load_dwordx4 s[8:11], s[0:1], 0x18
	s_load_dwordx2 s[2:3], s[0:1], 0x38
	s_movk_i32 s0, 0x78
	v_mul_lo_u16_sdwa v1, v1, s0 dst_sel:DWORD dst_unused:UNUSED_PAD src0_sel:WORD_1 src1_sel:DWORD
	s_mov_b32 s0, 0
	v_mov_b32_e32 v173, s0
	s_waitcnt lgkmcnt(0)
	v_mov_b32_e32 v4, s2
	v_mov_b32_e32 v5, s3
	s_load_dwordx4 s[0:3], s[10:11], 0x0
	v_accvgpr_write_b32 a99, v5             ;  Reload Reuse
	v_accvgpr_write_b32 a100, v4            ;  Reload Reuse
	v_sub_u16_e32 v172, v0, v1
	v_mov_b32_e32 v2, s14
	s_waitcnt lgkmcnt(0)
	v_mad_u64_u32 v[4:5], s[10:11], s2, v244, 0
	s_load_dwordx4 s[8:11], s[8:9], 0x0
	v_mov_b32_e32 v0, v5
	v_mad_u64_u32 v[0:1], s[2:3], s3, v244, v[0:1]
	v_mov_b32_e32 v5, v0
	v_accvgpr_write_b32 a255, v5
	s_waitcnt lgkmcnt(0)
	v_mad_u64_u32 v[0:1], s[2:3], s10, v244, 0
	v_accvgpr_write_b32 a254, v4
	v_mov_b32_e32 v4, v1
	v_mad_u64_u32 v[4:5], s[2:3], s11, v244, v[4:5]
	v_mov_b32_e32 v1, v4
	v_mad_u64_u32 v[4:5], s[2:3], s8, v172, 0
	v_mov_b32_e32 v6, v5
	v_mov_b32_e32 v3, s15
	v_mad_u64_u32 v[6:7], s[2:3], s9, v172, v[6:7]
	v_mov_b32_e32 v5, v6
	v_lshl_add_u64 v[2:3], v[0:1], 4, v[2:3]
	v_lshl_add_u64 v[12:13], v[4:5], 4, v[2:3]
	v_lshlrev_b32_e32 v244, 4, v172
	global_load_dwordx4 v[4:7], v[12:13], off
	global_load_dwordx4 v[14:17], v244, s[4:5]
	v_mov_b32_e32 v168, 0x1680
	v_lshl_add_u64 v[0:1], s[4:5], 0, v[244:245]
	v_mad_u64_u32 v[12:13], s[2:3], s8, v168, v[12:13]
	s_movk_i32 s27, 0x1000
	s_mul_i32 s2, s9, 0x1680
	v_add_u32_e32 v13, s2, v13
	s_movk_i32 s28, 0x2000
	s_movk_i32 s30, 0x4000
	;; [unrolled: 1-line block ×4, first 2 shown]
	s_mov_b32 s34, 0x8000
	s_mov_b32 s35, 0x9000
	;; [unrolled: 1-line block ×4, first 2 shown]
	s_add_u32 s20, s4, 0xe100
	s_mul_i32 s3, s9, 0xffff3d00
	s_addc_u32 s21, s5, 0
	s_sub_i32 s3, s3, s8
	s_movk_i32 s26, 0x3000
	s_movk_i32 s29, 0x6000
	s_mov_b32 s24, 0xa000
	s_mov_b32 s25, 0xd000
                                        ; kill: killed $sgpr4_sgpr5
	s_mov_b32 s13, 0xbfe2cf23
	s_mov_b32 s18, 0x9b97f4a8
	;; [unrolled: 1-line block ×6, first 2 shown]
	s_movk_i32 s22, 0xcd
	s_movk_i32 s23, 0x90
	s_waitcnt vmcnt(0)
	v_accvgpr_write_b32 a101, v17           ;  Reload Reuse
	v_mul_f64 v[8:9], v[6:7], v[16:17]
	v_fmac_f64_e32 v[8:9], v[4:5], v[14:15]
	v_mul_f64 v[4:5], v[4:5], v[16:17]
	scratch_store_dwordx3 off, v[14:16], off offset:20 ; 12-byte Folded Spill
	v_fma_f64 v[10:11], v[6:7], v[14:15], -v[4:5]
	global_load_dwordx4 v[4:7], v[12:13], off
	v_add_co_u32_e32 v14, vcc, s27, v0
	ds_write_b128 v244, v[8:11]
	s_nop 0
	v_addc_co_u32_e32 v15, vcc, 0, v1, vcc
	global_load_dwordx4 v[16:19], v[14:15], off offset:1664
                                        ; kill: killed $vgpr14 killed $vgpr15
	s_waitcnt vmcnt(0)
	v_mul_f64 v[8:9], v[6:7], v[18:19]
	v_fmac_f64_e32 v[8:9], v[4:5], v[16:17]
	v_mul_f64 v[4:5], v[4:5], v[18:19]
	v_fma_f64 v[10:11], v[6:7], v[16:17], -v[4:5]
	ds_write_b128 v244, v[8:11] offset:5760
	v_mad_u64_u32 v[8:9], s[10:11], s8, v168, v[12:13]
	v_add_co_u32_e32 v10, vcc, s28, v0
	v_add_u32_e32 v9, s2, v9
	s_nop 0
	v_addc_co_u32_e32 v11, vcc, 0, v1, vcc
	scratch_store_dwordx4 off, v[16:19], off offset:36 ; 16-byte Folded Spill
	global_load_dwordx4 v[4:7], v[8:9], off
	v_mad_u64_u32 v[8:9], s[10:11], s8, v168, v[8:9]
	global_load_dwordx4 v[18:21], v[10:11], off offset:3328
	v_add_u32_e32 v9, s2, v9
	s_waitcnt vmcnt(0)
	v_mul_f64 v[16:17], v[6:7], v[20:21]
	v_fmac_f64_e32 v[16:17], v[4:5], v[18:19]
	v_mul_f64 v[4:5], v[4:5], v[20:21]
	scratch_store_dwordx4 off, v[18:21], off offset:100 ; 16-byte Folded Spill
	s_nop 1
	v_fma_f64 v[18:19], v[6:7], v[18:19], -v[4:5]
	ds_write_b128 v244, v[16:19] offset:11520
	v_add_co_u32_e32 v16, vcc, s30, v0
	global_load_dwordx4 v[4:7], v[8:9], off
	s_nop 0
	v_addc_co_u32_e32 v17, vcc, 0, v1, vcc
	global_load_dwordx4 v[20:23], v[16:17], off offset:896
	v_mad_u64_u32 v[8:9], s[10:11], s8, v168, v[8:9]
	v_add_co_u32_e32 v12, vcc, s31, v0
	v_add_u32_e32 v9, s2, v9
	s_nop 0
	v_addc_co_u32_e32 v13, vcc, 0, v1, vcc
	s_waitcnt vmcnt(0)
	v_mul_f64 v[18:19], v[6:7], v[22:23]
	v_fmac_f64_e32 v[18:19], v[4:5], v[20:21]
	v_mul_f64 v[4:5], v[4:5], v[22:23]
	scratch_store_dwordx4 off, v[20:23], off offset:116 ; 16-byte Folded Spill
	s_nop 1
	v_fma_f64 v[20:21], v[6:7], v[20:21], -v[4:5]
	ds_write_b128 v244, v[18:21] offset:17280
	global_load_dwordx4 v[4:7], v[8:9], off
	global_load_dwordx4 v[20:23], v[12:13], off offset:2560
	s_waitcnt vmcnt(0)
	v_mul_f64 v[18:19], v[6:7], v[22:23]
	v_fmac_f64_e32 v[18:19], v[4:5], v[20:21]
	v_mul_f64 v[4:5], v[4:5], v[22:23]
	scratch_store_dwordx4 off, v[20:23], off offset:276 ; 16-byte Folded Spill
	s_nop 1
	v_fma_f64 v[20:21], v[6:7], v[20:21], -v[4:5]
	v_mad_u64_u32 v[22:23], s[10:11], s8, v168, v[8:9]
	v_add_co_u32_e32 v4, vcc, s33, v0
	v_add_u32_e32 v23, s2, v23
	s_nop 0
	v_addc_co_u32_e32 v5, vcc, 0, v1, vcc
	global_load_dwordx4 v[6:9], v[22:23], off
	global_load_dwordx4 v[24:27], v[4:5], off offset:128
	ds_write_b128 v244, v[18:21] offset:23040
	s_waitcnt vmcnt(0)
	v_mul_f64 v[18:19], v[8:9], v[26:27]
	v_fmac_f64_e32 v[18:19], v[6:7], v[24:25]
	v_mul_f64 v[6:7], v[6:7], v[26:27]
	scratch_store_dwordx4 off, v[24:27], off offset:340 ; 16-byte Folded Spill
	v_fma_f64 v[20:21], v[8:9], v[24:25], -v[6:7]
	ds_write_b128 v244, v[18:21] offset:28800
	v_mad_u64_u32 v[24:25], s[10:11], s8, v168, v[22:23]
	v_add_co_u32_e32 v22, vcc, s34, v0
	v_add_u32_e32 v25, s2, v25
	s_nop 0
	v_addc_co_u32_e32 v23, vcc, 0, v1, vcc
	global_load_dwordx4 v[6:9], v[24:25], off
	global_load_dwordx4 v[26:29], v[22:23], off offset:1792
                                        ; kill: killed $vgpr22 killed $vgpr23
	s_waitcnt vmcnt(0)
	v_mul_f64 v[18:19], v[8:9], v[28:29]
	v_fmac_f64_e32 v[18:19], v[6:7], v[26:27]
	v_mul_f64 v[6:7], v[6:7], v[28:29]
	v_fma_f64 v[20:21], v[8:9], v[26:27], -v[6:7]
	v_mad_u64_u32 v[6:7], s[10:11], s8, v168, v[24:25]
	v_add_co_u32_e32 v8, vcc, s35, v0
	v_accvgpr_write_b32 a105, v29
	v_add_u32_e32 v7, s2, v7
	v_addc_co_u32_e32 v9, vcc, 0, v1, vcc
	v_accvgpr_write_b32 a104, v28
	v_accvgpr_write_b32 a103, v27
	;; [unrolled: 1-line block ×3, first 2 shown]
	ds_write_b128 v244, v[18:21] offset:34560
	global_load_dwordx4 v[18:21], v[6:7], off
	global_load_dwordx4 v[28:31], v[8:9], off offset:3456
	v_mad_u64_u32 v[6:7], s[10:11], s8, v168, v[6:7]
	v_add_u32_e32 v7, s2, v7
	s_waitcnt vmcnt(0)
	v_mul_f64 v[24:25], v[20:21], v[30:31]
	v_fmac_f64_e32 v[24:25], v[18:19], v[28:29]
	v_mul_f64 v[18:19], v[18:19], v[30:31]
	v_fma_f64 v[26:27], v[20:21], v[28:29], -v[18:19]
	ds_write_b128 v244, v[24:27] offset:40320
	v_add_co_u32_e32 v24, vcc, s36, v0
	v_accvgpr_write_b32 a117, v31
	s_nop 0
	v_addc_co_u32_e32 v25, vcc, 0, v1, vcc
	v_accvgpr_write_b32 a116, v30
	v_accvgpr_write_b32 a115, v29
	;; [unrolled: 1-line block ×3, first 2 shown]
	global_load_dwordx4 v[18:21], v[6:7], off
	global_load_dwordx4 v[30:33], v[24:25], off offset:1024
                                        ; kill: killed $vgpr24 killed $vgpr25
	s_waitcnt vmcnt(0)
	v_mul_f64 v[26:27], v[20:21], v[32:33]
	v_fmac_f64_e32 v[26:27], v[18:19], v[30:31]
	v_mul_f64 v[18:19], v[18:19], v[32:33]
	v_accvgpr_write_b32 a121, v33
	v_fma_f64 v[28:29], v[20:21], v[30:31], -v[18:19]
	v_accvgpr_write_b32 a120, v32
	v_accvgpr_write_b32 a119, v31
	;; [unrolled: 1-line block ×3, first 2 shown]
	v_mad_u64_u32 v[30:31], s[10:11], s8, v168, v[6:7]
	v_add_co_u32_e32 v6, vcc, s37, v0
	v_add_u32_e32 v31, s2, v31
	s_nop 0
	v_addc_co_u32_e32 v7, vcc, 0, v1, vcc
	global_load_dwordx4 v[18:21], v[30:31], off
	global_load_dwordx4 v[32:35], v[6:7], off offset:2688
	ds_write_b128 v244, v[26:29] offset:46080
	s_mov_b64 s[10:11], 0x78
	v_lshl_add_u64 v[120:121], v[172:173], 0, s[10:11]
	v_mul_lo_u16_e32 v121, 10, v172
	s_waitcnt vmcnt(0)
	v_mul_f64 v[26:27], v[20:21], v[34:35]
	v_fmac_f64_e32 v[26:27], v[18:19], v[32:33]
	v_mul_f64 v[18:19], v[18:19], v[34:35]
	v_fma_f64 v[28:29], v[20:21], v[32:33], -v[18:19]
	v_mov_b32_e32 v18, 0xffff3d00
	v_mad_u64_u32 v[30:31], s[10:11], s8, v18, v[30:31]
	ds_write_b128 v244, v[26:29] offset:51840
	v_add_u32_e32 v31, s3, v31
	global_load_dwordx4 v[18:21], v[30:31], off
	global_load_dwordx4 v[36:39], v244, s[4:5] offset:1920
	v_mad_u64_u32 v[30:31], s[10:11], s8, v168, v[30:31]
	v_add_u32_e32 v31, s2, v31
	v_accvgpr_write_b32 a125, v35
	v_accvgpr_write_b32 a124, v34
	;; [unrolled: 1-line block ×4, first 2 shown]
	v_mov_b32_e32 v34, 0xffff3d00
	s_waitcnt vmcnt(0)
	v_mul_f64 v[26:27], v[20:21], v[38:39]
	v_fmac_f64_e32 v[26:27], v[18:19], v[36:37]
	v_mul_f64 v[18:19], v[18:19], v[38:39]
	v_fma_f64 v[28:29], v[20:21], v[36:37], -v[18:19]
	scratch_store_dwordx4 off, v[36:39], off offset:52 ; 16-byte Folded Spill
	ds_write_b128 v244, v[26:29] offset:1920
	global_load_dwordx4 v[18:21], v[30:31], off
	global_load_dwordx4 v[36:39], v[14:15], off offset:3584
	s_waitcnt vmcnt(0)
	v_mul_f64 v[26:27], v[20:21], v[38:39]
	v_mul_f64 v[14:15], v[18:19], v[38:39]
	v_fmac_f64_e32 v[26:27], v[18:19], v[36:37]
	v_fma_f64 v[28:29], v[20:21], v[36:37], -v[14:15]
	v_mad_u64_u32 v[14:15], s[10:11], s8, v168, v[30:31]
	v_add_co_u32_e32 v18, vcc, s26, v0
	v_add_u32_e32 v15, s2, v15
	s_nop 0
	v_addc_co_u32_e32 v19, vcc, 0, v1, vcc
	scratch_store_dwordx4 off, v[36:39], off offset:68 ; 16-byte Folded Spill
	ds_write_b128 v244, v[26:29] offset:7680
	global_load_dwordx4 v[26:29], v[14:15], off
	global_load_dwordx4 v[36:39], v[18:19], off offset:1152
                                        ; kill: killed $vgpr18 killed $vgpr19
	s_waitcnt vmcnt(0)
	v_mul_f64 v[30:31], v[28:29], v[38:39]
	v_mul_f64 v[20:21], v[26:27], v[38:39]
	v_fmac_f64_e32 v[30:31], v[26:27], v[36:37]
	v_fma_f64 v[32:33], v[28:29], v[36:37], -v[20:21]
	v_mad_u64_u32 v[20:21], s[10:11], s8, v168, v[14:15]
	scratch_store_dwordx4 off, v[36:39], off offset:84 ; 16-byte Folded Spill
	ds_write_b128 v244, v[30:33] offset:13440
	v_add_u32_e32 v21, s2, v21
	global_load_dwordx4 v[26:29], v[20:21], off
	global_load_dwordx4 v[30:33], v[16:17], off offset:2816
	s_waitcnt vmcnt(0)
	v_mul_f64 v[14:15], v[28:29], v[32:33]
	v_mul_f64 v[16:17], v[26:27], v[32:33]
	scratch_store_dwordx4 off, v[30:33], off offset:212 ; 16-byte Folded Spill
	v_fmac_f64_e32 v[14:15], v[26:27], v[30:31]
	v_fma_f64 v[16:17], v[28:29], v[30:31], -v[16:17]
	v_mad_u64_u32 v[30:31], s[10:11], s8, v168, v[20:21]
	v_add_co_u32_e32 v20, vcc, s29, v0
	v_add_u32_e32 v31, s2, v31
	s_nop 0
	v_addc_co_u32_e32 v21, vcc, 0, v1, vcc
	ds_write_b128 v244, v[14:17] offset:19200
	global_load_dwordx4 v[14:17], v[30:31], off
	global_load_dwordx4 v[36:39], v[20:21], off offset:384
	s_waitcnt vmcnt(0)
	v_mul_f64 v[26:27], v[16:17], v[38:39]
	v_fmac_f64_e32 v[26:27], v[14:15], v[36:37]
	v_mul_f64 v[14:15], v[14:15], v[38:39]
	v_fma_f64 v[28:29], v[16:17], v[36:37], -v[14:15]
	ds_write_b128 v244, v[26:29] offset:24960
	v_or_b32_e32 v26, 0x780, v172
	v_mad_u64_u32 v[14:15], s[10:11], s8, v26, 0
	v_mov_b32_e32 v16, v15
	v_mad_u64_u32 v[16:17], s[10:11], s9, v26, v[16:17]
	v_mov_b32_e32 v15, v16
	v_lshl_add_u64 v[2:3], v[14:15], 4, v[2:3]
	v_lshlrev_b32_e32 v246, 4, v26
	scratch_store_dwordx4 off, v[36:39], off offset:228 ; 16-byte Folded Spill
	global_load_dwordx4 v[14:17], v[2:3], off
	s_mulk_i32 s9, 0x2d00
	global_load_dwordx4 v[36:39], v246, s[4:5]
	s_waitcnt vmcnt(0)
	v_mul_f64 v[2:3], v[14:15], v[38:39]
	scratch_store_dword off, v26, off offset:16 ; 4-byte Folded Spill
	v_mul_f64 v[26:27], v[16:17], v[38:39]
	v_fma_f64 v[28:29], v[16:17], v[36:37], -v[2:3]
	v_mov_b32_e32 v2, 0x2d00
	v_fmac_f64_e32 v[26:27], v[14:15], v[36:37]
	v_mad_u64_u32 v[2:3], s[10:11], s8, v2, v[30:31]
	scratch_store_dwordx4 off, v[36:39], off offset:260 ; 16-byte Folded Spill
	ds_write_b128 v244, v[26:29] offset:30720
	v_add_u32_e32 v3, s9, v3
	global_load_dwordx4 v[14:17], v[2:3], off
	global_load_dwordx4 v[28:31], v[22:23], off offset:3712
	v_mad_u64_u32 v[2:3], s[10:11], s8, v168, v[2:3]
	v_add_u32_e32 v3, s2, v3
	s_waitcnt vmcnt(0)
	v_mul_f64 v[26:27], v[16:17], v[30:31]
	v_fmac_f64_e32 v[26:27], v[14:15], v[28:29]
	v_mul_f64 v[14:15], v[14:15], v[30:31]
	scratch_store_dwordx4 off, v[28:31], off offset:196 ; 16-byte Folded Spill
	s_nop 1
	v_fma_f64 v[28:29], v[16:17], v[28:29], -v[14:15]
	v_add_co_u32_e32 v16, vcc, s24, v0
	ds_write_b128 v244, v[26:29] offset:36480
	s_nop 0
	v_addc_co_u32_e32 v17, vcc, 0, v1, vcc
	global_load_dwordx4 v[26:29], v[2:3], off
	global_load_dwordx4 v[36:39], v[16:17], off offset:1280
	v_mad_u64_u32 v[2:3], s[10:11], s8, v168, v[2:3]
	v_add_u32_e32 v3, s2, v3
	s_waitcnt vmcnt(0)
	v_mul_f64 v[30:31], v[28:29], v[38:39]
	v_mul_f64 v[14:15], v[26:27], v[38:39]
	v_fmac_f64_e32 v[30:31], v[26:27], v[36:37]
	v_fma_f64 v[32:33], v[28:29], v[36:37], -v[14:15]
	scratch_store_dwordx4 off, v[36:39], off offset:148 ; 16-byte Folded Spill
	ds_write_b128 v244, v[30:33] offset:42240
	global_load_dwordx4 v[26:29], v[2:3], off
	global_load_dwordx4 v[30:33], v[24:25], off offset:2944
	s_waitcnt vmcnt(0)
	v_mul_f64 v[22:23], v[28:29], v[32:33]
	v_mul_f64 v[14:15], v[26:27], v[32:33]
	v_fmac_f64_e32 v[22:23], v[26:27], v[30:31]
	v_fma_f64 v[24:25], v[28:29], v[30:31], -v[14:15]
	v_mad_u64_u32 v[26:27], s[10:11], s8, v168, v[2:3]
	v_add_co_u32_e32 v14, vcc, s25, v0
	v_add_u32_e32 v27, s2, v27
	s_nop 0
	v_addc_co_u32_e32 v15, vcc, 0, v1, vcc
	scratch_store_dwordx4 off, v[30:33], off offset:132 ; 16-byte Folded Spill
	ds_write_b128 v244, v[22:25] offset:48000
	global_load_dwordx4 v[22:25], v[26:27], off
	global_load_dwordx4 v[28:31], v[14:15], off offset:512
	s_mov_b64 s[10:11], 0xf0
	v_lshl_add_u64 v[122:123], v[172:173], 0, s[10:11]
	v_mad_u64_u32 v[26:27], s[10:11], s8, v34, v[26:27]
	v_add_u32_e32 v27, s3, v27
	s_mov_b32 s11, 0xbfee6f0e
	v_lshlrev_b32_e32 v173, 4, v121
	v_mul_lo_u16_sdwa v121, v172, s22 dst_sel:DWORD dst_unused:UNUSED_PAD src0_sel:BYTE_0 src1_sel:DWORD
	v_lshrrev_b16_e32 v121, 11, v121
	v_mul_lo_u16_e32 v123, 10, v121
	v_sub_u16_e32 v123, v172, v123
	v_and_b32_e32 v123, 0xff, v123
	v_mul_u32_u24_e32 v121, 0x64, v121
	v_add_lshl_u32 v252, v121, v123, 4
	v_add_u32_e32 v121, 0xffffff9c, v172
	s_waitcnt vmcnt(0)
	v_mul_f64 v[0:1], v[24:25], v[30:31]
	v_mul_f64 v[2:3], v[22:23], v[30:31]
	v_fmac_f64_e32 v[0:1], v[22:23], v[28:29]
	v_fma_f64 v[2:3], v[24:25], v[28:29], -v[2:3]
	scratch_store_dwordx4 off, v[28:31], off offset:164 ; 16-byte Folded Spill
	ds_write_b128 v244, v[0:3] offset:53760
	global_load_dwordx4 v[0:3], v[26:27], off
	global_load_dwordx4 v[28:31], v244, s[4:5] offset:3840
	s_waitcnt vmcnt(0)
	v_mul_f64 v[22:23], v[2:3], v[30:31]
	v_fmac_f64_e32 v[22:23], v[0:1], v[28:29]
	v_mul_f64 v[0:1], v[0:1], v[30:31]
	v_fma_f64 v[24:25], v[2:3], v[28:29], -v[0:1]
	ds_write_b128 v244, v[22:25] offset:3840
	v_mad_u64_u32 v[22:23], s[4:5], s8, v168, v[26:27]
	scratch_store_dwordx4 off, v[28:31], off ; 16-byte Folded Spill
	v_add_u32_e32 v23, s2, v23
	global_load_dwordx4 v[0:3], v[22:23], off
	global_load_dwordx4 v[28:31], v[10:11], off offset:1408
	v_mad_u64_u32 v[10:11], s[4:5], s8, v168, v[22:23]
	v_add_u32_e32 v11, s2, v11
	s_waitcnt vmcnt(0)
	v_mul_f64 v[24:25], v[2:3], v[30:31]
	v_fmac_f64_e32 v[24:25], v[0:1], v[28:29]
	v_mul_f64 v[0:1], v[0:1], v[30:31]
	v_fma_f64 v[26:27], v[2:3], v[28:29], -v[0:1]
	ds_write_b128 v244, v[24:27] offset:9600
	global_load_dwordx4 v[0:3], v[10:11], off
	global_load_dwordx4 v[24:27], v[18:19], off offset:3072
	v_mad_u64_u32 v[18:19], s[4:5], s8, v168, v[10:11]
	v_add_u32_e32 v19, s2, v19
	v_accvgpr_write_b32 a109, v31
	v_accvgpr_write_b32 a108, v30
	;; [unrolled: 1-line block ×4, first 2 shown]
	s_waitcnt vmcnt(0)
	v_mul_f64 v[22:23], v[2:3], v[26:27]
	v_fmac_f64_e32 v[22:23], v[0:1], v[24:25]
	v_mul_f64 v[0:1], v[0:1], v[26:27]
	scratch_store_dwordx4 off, v[24:27], off offset:244 ; 16-byte Folded Spill
	s_nop 1
	v_fma_f64 v[24:25], v[2:3], v[24:25], -v[0:1]
	ds_write_b128 v244, v[22:25] offset:15360
	global_load_dwordx4 v[0:3], v[18:19], off
	global_load_dwordx4 v[22:25], v[12:13], off offset:640
	v_mad_u64_u32 v[18:19], s[4:5], s8, v168, v[18:19]
	v_add_u32_e32 v19, s2, v19
	s_waitcnt vmcnt(0)
	v_mul_f64 v[10:11], v[2:3], v[24:25]
	v_fmac_f64_e32 v[10:11], v[0:1], v[22:23]
	v_mul_f64 v[0:1], v[0:1], v[24:25]
	v_fma_f64 v[12:13], v[2:3], v[22:23], -v[0:1]
	scratch_store_dwordx4 off, v[22:25], off offset:372 ; 16-byte Folded Spill
	ds_write_b128 v244, v[10:13] offset:21120
	global_load_dwordx4 v[0:3], v[18:19], off
	s_nop 0
	global_load_dwordx4 v[20:23], v[20:21], off offset:2304
	v_mad_u64_u32 v[18:19], s[4:5], s8, v168, v[18:19]
	v_add_u32_e32 v19, s2, v19
	s_waitcnt vmcnt(0)
	v_mul_f64 v[10:11], v[2:3], v[22:23]
	v_fmac_f64_e32 v[10:11], v[0:1], v[20:21]
	v_mul_f64 v[0:1], v[0:1], v[22:23]
	v_fma_f64 v[12:13], v[2:3], v[20:21], -v[0:1]
	scratch_store_dwordx4 off, v[20:23], off offset:180 ; 16-byte Folded Spill
	ds_write_b128 v244, v[10:13] offset:26880
	global_load_dwordx4 v[0:3], v[18:19], off
	global_load_dwordx4 v[20:23], v[4:5], off offset:3968
	v_mad_u64_u32 v[4:5], s[4:5], s8, v168, v[18:19]
	v_add_u32_e32 v5, s2, v5
	s_waitcnt vmcnt(0)
	v_mul_f64 v[10:11], v[2:3], v[22:23]
	v_fmac_f64_e32 v[10:11], v[0:1], v[20:21]
	v_mul_f64 v[0:1], v[0:1], v[22:23]
	v_fma_f64 v[12:13], v[2:3], v[20:21], -v[0:1]
	scratch_store_dwordx4 off, v[20:23], off offset:356 ; 16-byte Folded Spill
	ds_write_b128 v244, v[10:13] offset:32640
	global_load_dwordx4 v[0:3], v[4:5], off
	global_load_dwordx4 v[10:13], v[8:9], off offset:1536
	v_mad_u64_u32 v[4:5], s[4:5], s8, v168, v[4:5]
	v_add_u32_e32 v5, s2, v5
	s_waitcnt vmcnt(0)
	v_mul_f64 v[8:9], v[2:3], v[12:13]
	v_fmac_f64_e32 v[8:9], v[0:1], v[10:11]
	v_mul_f64 v[0:1], v[0:1], v[12:13]
	scratch_store_dwordx4 off, v[10:13], off offset:308 ; 16-byte Folded Spill
	s_nop 1
	v_fma_f64 v[10:11], v[2:3], v[10:11], -v[0:1]
	ds_write_b128 v244, v[8:11] offset:38400
	global_load_dwordx4 v[0:3], v[4:5], off
	global_load_dwordx4 v[10:13], v[16:17], off offset:3200
	s_waitcnt vmcnt(0)
	v_mul_f64 v[8:9], v[2:3], v[12:13]
	v_fmac_f64_e32 v[8:9], v[0:1], v[10:11]
	v_mul_f64 v[0:1], v[0:1], v[12:13]
	scratch_store_dwordx4 off, v[10:13], off offset:292 ; 16-byte Folded Spill
	s_nop 1
	v_fma_f64 v[10:11], v[2:3], v[10:11], -v[0:1]
	ds_write_b128 v244, v[8:11] offset:44160
	v_mad_u64_u32 v[8:9], s[4:5], s8, v168, v[4:5]
	v_add_u32_e32 v9, s2, v9
	global_load_dwordx4 v[0:3], v[8:9], off
	global_load_dwordx4 v[10:13], v[6:7], off offset:768
	s_waitcnt vmcnt(0)
	v_mul_f64 v[4:5], v[2:3], v[12:13]
	v_fmac_f64_e32 v[4:5], v[0:1], v[10:11]
	v_mul_f64 v[0:1], v[0:1], v[12:13]
	v_fma_f64 v[6:7], v[2:3], v[10:11], -v[0:1]
	v_mad_u64_u32 v[0:1], s[4:5], s8, v168, v[8:9]
	scratch_store_dwordx4 off, v[10:13], off offset:324 ; 16-byte Folded Spill
	ds_write_b128 v244, v[4:7] offset:49920
	v_add_u32_e32 v1, s2, v1
	global_load_dwordx4 v[0:3], v[0:1], off
	s_nop 0
	global_load_dwordx4 v[4:7], v[14:15], off offset:2432
	s_mov_b32 s4, 0x134454ff
	s_mov_b32 s5, 0x3fee6f0e
	;; [unrolled: 1-line block ×9, first 2 shown]
	s_waitcnt vmcnt(0)
	v_mov_b64_e32 v[8:9], v[6:7]
	v_mov_b64_e32 v[6:7], v[4:5]
	v_mul_f64 v[4:5], v[2:3], v[8:9]
	v_fmac_f64_e32 v[4:5], v[0:1], v[6:7]
	v_mul_f64 v[0:1], v[0:1], v[8:9]
	v_mov_b64_e32 v[10:11], v[8:9]
	v_mov_b64_e32 v[8:9], v[6:7]
	v_fma_f64 v[6:7], v[2:3], v[8:9], -v[0:1]
	v_accvgpr_write_b32 a113, v11
	v_accvgpr_write_b32 a112, v10
	;; [unrolled: 1-line block ×4, first 2 shown]
	ds_write_b128 v244, v[4:7] offset:55680
	s_waitcnt lgkmcnt(0)
	s_barrier
	ds_read_b128 v[36:39], v244
	ds_read_b128 v[24:27], v244 offset:5760
	ds_read_b128 v[16:19], v244 offset:11520
	;; [unrolled: 1-line block ×29, first 2 shown]
	s_waitcnt lgkmcnt(14)
	v_add_f64 v[124:125], v[36:37], v[16:17]
	v_add_f64 v[124:125], v[124:125], v[28:29]
	;; [unrolled: 1-line block ×5, first 2 shown]
	v_fma_f64 v[124:125], -0.5, v[124:125], v[36:37]
	v_add_f64 v[130:131], v[18:19], -v[42:43]
	v_fma_f64 v[128:129], s[4:5], v[130:131], v[124:125]
	v_add_f64 v[132:133], v[30:31], -v[34:35]
	v_add_f64 v[134:135], v[16:17], -v[28:29]
	;; [unrolled: 1-line block ×3, first 2 shown]
	v_fmac_f64_e32 v[124:125], s[10:11], v[130:131]
	v_fmac_f64_e32 v[128:129], s[2:3], v[132:133]
	v_add_f64 v[134:135], v[134:135], v[136:137]
	v_fmac_f64_e32 v[124:125], s[12:13], v[132:133]
	v_fmac_f64_e32 v[128:129], s[8:9], v[134:135]
	;; [unrolled: 1-line block ×3, first 2 shown]
	v_add_f64 v[134:135], v[16:17], v[40:41]
	v_fmac_f64_e32 v[36:37], -0.5, v[134:135]
	v_fma_f64 v[134:135], s[10:11], v[132:133], v[36:37]
	v_fmac_f64_e32 v[36:37], s[4:5], v[132:133]
	v_fmac_f64_e32 v[134:135], s[2:3], v[130:131]
	;; [unrolled: 1-line block ×3, first 2 shown]
	v_add_f64 v[130:131], v[38:39], v[18:19]
	v_add_f64 v[130:131], v[130:131], v[30:31]
	;; [unrolled: 1-line block ×3, first 2 shown]
	v_add_f64 v[136:137], v[28:29], -v[16:17]
	v_add_f64 v[138:139], v[32:33], -v[40:41]
	v_add_f64 v[132:133], v[130:131], v[42:43]
	v_add_f64 v[130:131], v[30:31], v[34:35]
	;; [unrolled: 1-line block ×3, first 2 shown]
	v_fma_f64 v[130:131], -0.5, v[130:131], v[38:39]
	v_add_f64 v[16:17], v[16:17], -v[40:41]
	v_fmac_f64_e32 v[134:135], s[8:9], v[136:137]
	v_fmac_f64_e32 v[36:37], s[8:9], v[136:137]
	v_fma_f64 v[136:137], s[10:11], v[16:17], v[130:131]
	v_add_f64 v[28:29], v[28:29], -v[32:33]
	v_add_f64 v[32:33], v[18:19], -v[30:31]
	;; [unrolled: 1-line block ×3, first 2 shown]
	v_fmac_f64_e32 v[130:131], s[4:5], v[16:17]
	v_fmac_f64_e32 v[136:137], s[12:13], v[28:29]
	v_add_f64 v[32:33], v[32:33], v[40:41]
	v_fmac_f64_e32 v[130:131], s[2:3], v[28:29]
	v_fmac_f64_e32 v[136:137], s[8:9], v[32:33]
	;; [unrolled: 1-line block ×3, first 2 shown]
	v_add_f64 v[32:33], v[18:19], v[42:43]
	v_fmac_f64_e32 v[38:39], -0.5, v[32:33]
	v_fma_f64 v[138:139], s[4:5], v[28:29], v[38:39]
	v_fmac_f64_e32 v[38:39], s[10:11], v[28:29]
	v_fmac_f64_e32 v[138:139], s[12:13], v[16:17]
	;; [unrolled: 1-line block ×3, first 2 shown]
	v_add_f64 v[16:17], v[24:25], v[0:1]
	v_add_f64 v[16:17], v[16:17], v[4:5]
	;; [unrolled: 1-line block ×3, first 2 shown]
	v_add_f64 v[18:19], v[30:31], -v[18:19]
	v_add_f64 v[30:31], v[34:35], -v[42:43]
	v_add_f64 v[28:29], v[16:17], v[12:13]
	v_add_f64 v[16:17], v[4:5], v[8:9]
	;; [unrolled: 1-line block ×3, first 2 shown]
	v_fma_f64 v[30:31], -0.5, v[16:17], v[24:25]
	v_add_f64 v[16:17], v[2:3], -v[14:15]
	v_fmac_f64_e32 v[138:139], s[8:9], v[18:19]
	v_fmac_f64_e32 v[38:39], s[8:9], v[18:19]
	v_fma_f64 v[18:19], s[4:5], v[16:17], v[30:31]
	v_add_f64 v[32:33], v[6:7], -v[10:11]
	v_add_f64 v[34:35], v[0:1], -v[4:5]
	;; [unrolled: 1-line block ×3, first 2 shown]
	v_fmac_f64_e32 v[30:31], s[10:11], v[16:17]
	v_fmac_f64_e32 v[18:19], s[2:3], v[32:33]
	v_add_f64 v[34:35], v[34:35], v[40:41]
	v_fmac_f64_e32 v[30:31], s[12:13], v[32:33]
	v_fmac_f64_e32 v[18:19], s[8:9], v[34:35]
	;; [unrolled: 1-line block ×3, first 2 shown]
	v_add_f64 v[34:35], v[0:1], v[12:13]
	v_fmac_f64_e32 v[24:25], -0.5, v[34:35]
	v_fma_f64 v[34:35], s[10:11], v[32:33], v[24:25]
	v_fmac_f64_e32 v[24:25], s[4:5], v[32:33]
	v_fmac_f64_e32 v[34:35], s[2:3], v[16:17]
	;; [unrolled: 1-line block ×3, first 2 shown]
	v_add_f64 v[16:17], v[26:27], v[2:3]
	v_add_f64 v[16:17], v[16:17], v[6:7]
	v_add_f64 v[40:41], v[4:5], -v[0:1]
	v_add_f64 v[42:43], v[8:9], -v[12:13]
	v_add_f64 v[16:17], v[16:17], v[10:11]
	v_add_f64 v[40:41], v[40:41], v[42:43]
	;; [unrolled: 1-line block ×4, first 2 shown]
	v_fma_f64 v[32:33], -0.5, v[16:17], v[26:27]
	v_add_f64 v[0:1], v[0:1], -v[12:13]
	v_fmac_f64_e32 v[34:35], s[8:9], v[40:41]
	v_fmac_f64_e32 v[24:25], s[8:9], v[40:41]
	v_fma_f64 v[40:41], s[10:11], v[0:1], v[32:33]
	v_add_f64 v[4:5], v[4:5], -v[8:9]
	v_add_f64 v[8:9], v[2:3], -v[6:7]
	;; [unrolled: 1-line block ×3, first 2 shown]
	v_fmac_f64_e32 v[32:33], s[4:5], v[0:1]
	v_fmac_f64_e32 v[40:41], s[12:13], v[4:5]
	v_add_f64 v[8:9], v[8:9], v[12:13]
	v_fmac_f64_e32 v[32:33], s[2:3], v[4:5]
	v_fmac_f64_e32 v[40:41], s[8:9], v[8:9]
	;; [unrolled: 1-line block ×3, first 2 shown]
	v_add_f64 v[8:9], v[2:3], v[14:15]
	v_fmac_f64_e32 v[26:27], -0.5, v[8:9]
	v_fma_f64 v[140:141], s[4:5], v[4:5], v[26:27]
	v_add_f64 v[2:3], v[6:7], -v[2:3]
	v_add_f64 v[6:7], v[10:11], -v[14:15]
	v_fmac_f64_e32 v[26:27], s[10:11], v[4:5]
	v_add_f64 v[2:3], v[2:3], v[6:7]
	v_fmac_f64_e32 v[26:27], s[2:3], v[0:1]
	v_fmac_f64_e32 v[26:27], s[8:9], v[2:3]
	v_mul_f64 v[146:147], v[24:25], s[16:17]
	v_mul_f64 v[148:149], v[30:31], s[14:15]
	;; [unrolled: 1-line block ×3, first 2 shown]
	v_fmac_f64_e32 v[146:147], s[4:5], v[26:27]
	v_fmac_f64_e32 v[148:149], s[2:3], v[32:33]
	v_mul_f64 v[150:151], v[18:19], s[12:13]
	v_fmac_f64_e32 v[142:143], s[2:3], v[40:41]
	v_add_f64 v[16:17], v[36:37], v[146:147]
	v_add_f64 v[12:13], v[124:125], v[148:149]
	v_fmac_f64_e32 v[150:151], s[18:19], v[40:41]
	v_add_f64 v[40:41], v[36:37], -v[146:147]
	v_add_f64 v[36:37], v[124:125], -v[148:149]
	v_add_f64 v[124:125], v[76:77], v[84:85]
	v_fmac_f64_e32 v[140:141], s[12:13], v[0:1]
	v_add_f64 v[124:125], v[124:125], v[108:109]
	v_fmac_f64_e32 v[140:141], s[8:9], v[2:3]
	v_mul_f64 v[152:153], v[34:35], s[10:11]
	s_waitcnt lgkmcnt(13)
	v_add_f64 v[124:125], v[124:125], v[112:113]
	v_add_f64 v[8:9], v[126:127], v[28:29]
	;; [unrolled: 1-line block ×3, first 2 shown]
	v_mul_f64 v[144:145], v[140:141], s[4:5]
	v_fmac_f64_e32 v[152:153], s[8:9], v[140:141]
	v_mul_f64 v[140:141], v[26:27], s[16:17]
	v_mul_f64 v[154:155], v[32:33], s[14:15]
	v_add_f64 v[32:33], v[126:127], -v[28:29]
	v_add_f64 v[28:29], v[128:129], -v[142:143]
	s_waitcnt lgkmcnt(11)
	v_add_f64 v[128:129], v[124:125], v[116:117]
	v_add_f64 v[124:125], v[108:109], v[112:113]
	v_fmac_f64_e32 v[144:145], s[8:9], v[34:35]
	v_fmac_f64_e32 v[140:141], s[10:11], v[24:25]
	;; [unrolled: 1-line block ×3, first 2 shown]
	v_fma_f64 v[124:125], -0.5, v[124:125], v[76:77]
	v_add_f64 v[126:127], v[86:87], -v[118:119]
	v_add_f64 v[0:1], v[134:135], v[144:145]
	v_add_f64 v[10:11], v[132:133], v[42:43]
	;; [unrolled: 1-line block ×5, first 2 shown]
	v_add_f64 v[24:25], v[134:135], -v[144:145]
	v_add_f64 v[34:35], v[132:133], -v[42:43]
	;; [unrolled: 1-line block ×5, first 2 shown]
	v_fma_f64 v[132:133], s[4:5], v[126:127], v[124:125]
	v_add_f64 v[130:131], v[110:111], -v[114:115]
	v_add_f64 v[134:135], v[84:85], -v[108:109]
	;; [unrolled: 1-line block ×3, first 2 shown]
	v_fmac_f64_e32 v[124:125], s[10:11], v[126:127]
	v_fmac_f64_e32 v[132:133], s[2:3], v[130:131]
	v_add_f64 v[134:135], v[134:135], v[136:137]
	v_fmac_f64_e32 v[124:125], s[12:13], v[130:131]
	v_fmac_f64_e32 v[132:133], s[8:9], v[134:135]
	;; [unrolled: 1-line block ×3, first 2 shown]
	v_add_f64 v[134:135], v[84:85], v[116:117]
	v_fmac_f64_e32 v[76:77], -0.5, v[134:135]
	v_fma_f64 v[136:137], s[10:11], v[130:131], v[76:77]
	v_fmac_f64_e32 v[76:77], s[4:5], v[130:131]
	v_fmac_f64_e32 v[136:137], s[2:3], v[126:127]
	;; [unrolled: 1-line block ×3, first 2 shown]
	v_add_f64 v[126:127], v[78:79], v[86:87]
	v_add_f64 v[126:127], v[126:127], v[110:111]
	;; [unrolled: 1-line block ×4, first 2 shown]
	v_add_f64 v[26:27], v[138:139], -v[152:153]
	v_add_f64 v[134:135], v[108:109], -v[84:85]
	;; [unrolled: 1-line block ×3, first 2 shown]
	v_add_f64 v[130:131], v[126:127], v[118:119]
	v_add_f64 v[126:127], v[110:111], v[114:115]
	;; [unrolled: 1-line block ×3, first 2 shown]
	v_fma_f64 v[126:127], -0.5, v[126:127], v[78:79]
	v_add_f64 v[84:85], v[84:85], -v[116:117]
	v_fmac_f64_e32 v[136:137], s[8:9], v[134:135]
	v_fmac_f64_e32 v[76:77], s[8:9], v[134:135]
	v_fma_f64 v[134:135], s[10:11], v[84:85], v[126:127]
	v_add_f64 v[108:109], v[108:109], -v[112:113]
	v_add_f64 v[112:113], v[86:87], -v[110:111]
	;; [unrolled: 1-line block ×3, first 2 shown]
	v_fmac_f64_e32 v[126:127], s[4:5], v[84:85]
	v_fmac_f64_e32 v[134:135], s[12:13], v[108:109]
	v_add_f64 v[112:113], v[112:113], v[116:117]
	v_fmac_f64_e32 v[126:127], s[2:3], v[108:109]
	v_fmac_f64_e32 v[134:135], s[8:9], v[112:113]
	;; [unrolled: 1-line block ×3, first 2 shown]
	v_add_f64 v[112:113], v[86:87], v[118:119]
	v_fmac_f64_e32 v[78:79], -0.5, v[112:113]
	v_fma_f64 v[138:139], s[4:5], v[108:109], v[78:79]
	v_fmac_f64_e32 v[78:79], s[10:11], v[108:109]
	v_fmac_f64_e32 v[138:139], s[12:13], v[84:85]
	;; [unrolled: 1-line block ×3, first 2 shown]
	v_add_f64 v[84:85], v[92:93], v[64:65]
	v_add_f64 v[84:85], v[84:85], v[68:69]
	;; [unrolled: 1-line block ×3, first 2 shown]
	v_add_f64 v[86:87], v[110:111], -v[86:87]
	v_add_f64 v[110:111], v[114:115], -v[118:119]
	s_waitcnt lgkmcnt(10)
	v_add_f64 v[108:109], v[84:85], v[80:81]
	v_add_f64 v[84:85], v[68:69], v[72:73]
	v_add_f64 v[86:87], v[86:87], v[110:111]
	v_fma_f64 v[110:111], -0.5, v[84:85], v[92:93]
	v_add_f64 v[84:85], v[66:67], -v[82:83]
	v_fmac_f64_e32 v[138:139], s[8:9], v[86:87]
	v_fmac_f64_e32 v[78:79], s[8:9], v[86:87]
	v_fma_f64 v[86:87], s[4:5], v[84:85], v[110:111]
	v_add_f64 v[112:113], v[70:71], -v[74:75]
	v_add_f64 v[114:115], v[64:65], -v[68:69]
	;; [unrolled: 1-line block ×3, first 2 shown]
	v_fmac_f64_e32 v[110:111], s[10:11], v[84:85]
	v_fmac_f64_e32 v[86:87], s[2:3], v[112:113]
	v_add_f64 v[114:115], v[114:115], v[116:117]
	v_fmac_f64_e32 v[110:111], s[12:13], v[112:113]
	v_fmac_f64_e32 v[86:87], s[8:9], v[114:115]
	;; [unrolled: 1-line block ×3, first 2 shown]
	v_add_f64 v[114:115], v[64:65], v[80:81]
	v_fmac_f64_e32 v[92:93], -0.5, v[114:115]
	v_fma_f64 v[116:117], s[10:11], v[112:113], v[92:93]
	v_fmac_f64_e32 v[92:93], s[4:5], v[112:113]
	v_fmac_f64_e32 v[116:117], s[2:3], v[84:85]
	;; [unrolled: 1-line block ×3, first 2 shown]
	v_add_f64 v[84:85], v[94:95], v[66:67]
	v_add_f64 v[114:115], v[68:69], -v[64:65]
	v_add_f64 v[118:119], v[72:73], -v[80:81]
	v_add_f64 v[84:85], v[84:85], v[70:71]
	v_add_f64 v[114:115], v[114:115], v[118:119]
	;; [unrolled: 1-line block ×3, first 2 shown]
	v_fmac_f64_e32 v[116:117], s[8:9], v[114:115]
	v_fmac_f64_e32 v[92:93], s[8:9], v[114:115]
	v_add_f64 v[114:115], v[84:85], v[82:83]
	v_add_f64 v[84:85], v[70:71], v[74:75]
	v_fma_f64 v[112:113], -0.5, v[84:85], v[94:95]
	v_add_f64 v[64:65], v[64:65], -v[80:81]
	v_fma_f64 v[118:119], s[10:11], v[64:65], v[112:113]
	v_add_f64 v[68:69], v[68:69], -v[72:73]
	v_add_f64 v[72:73], v[66:67], -v[70:71]
	;; [unrolled: 1-line block ×3, first 2 shown]
	v_fmac_f64_e32 v[112:113], s[4:5], v[64:65]
	v_fmac_f64_e32 v[118:119], s[12:13], v[68:69]
	v_add_f64 v[72:73], v[72:73], v[80:81]
	v_fmac_f64_e32 v[112:113], s[2:3], v[68:69]
	v_fmac_f64_e32 v[118:119], s[8:9], v[72:73]
	;; [unrolled: 1-line block ×3, first 2 shown]
	v_add_f64 v[72:73], v[66:67], v[82:83]
	v_fmac_f64_e32 v[94:95], -0.5, v[72:73]
	v_fma_f64 v[140:141], s[4:5], v[68:69], v[94:95]
	v_add_f64 v[66:67], v[70:71], -v[66:67]
	v_add_f64 v[70:71], v[74:75], -v[82:83]
	v_fmac_f64_e32 v[94:95], s[10:11], v[68:69]
	v_fmac_f64_e32 v[140:141], s[12:13], v[64:65]
	v_add_f64 v[66:67], v[66:67], v[70:71]
	v_fmac_f64_e32 v[94:95], s[2:3], v[64:65]
	v_fmac_f64_e32 v[140:141], s[8:9], v[66:67]
	;; [unrolled: 1-line block ×3, first 2 shown]
	v_mul_f64 v[146:147], v[92:93], s[16:17]
	v_mul_f64 v[148:149], v[110:111], s[14:15]
	;; [unrolled: 1-line block ×4, first 2 shown]
	v_fmac_f64_e32 v[146:147], s[4:5], v[94:95]
	v_fmac_f64_e32 v[148:149], s[2:3], v[112:113]
	v_mul_f64 v[150:151], v[86:87], s[12:13]
	v_fmac_f64_e32 v[142:143], s[2:3], v[118:119]
	v_fmac_f64_e32 v[144:145], s[8:9], v[116:117]
	v_add_f64 v[84:85], v[76:77], v[146:147]
	v_add_f64 v[80:81], v[124:125], v[148:149]
	v_fmac_f64_e32 v[150:151], s[18:19], v[118:119]
	v_mul_f64 v[118:119], v[116:117], s[10:11]
	v_add_f64 v[116:117], v[76:77], -v[146:147]
	v_add_f64 v[76:77], v[124:125], -v[148:149]
	s_waitcnt lgkmcnt(7)
	v_add_f64 v[124:125], v[20:21], v[88:89]
	s_waitcnt lgkmcnt(5)
	v_add_f64 v[124:125], v[124:125], v[96:97]
	;; [unrolled: 2-line block ×3, first 2 shown]
	v_add_f64 v[74:75], v[130:131], v[114:115]
	v_fmac_f64_e32 v[118:119], s[8:9], v[140:141]
	v_mul_f64 v[140:141], v[94:95], s[16:17]
	v_mul_f64 v[152:153], v[112:113], s[14:15]
	v_add_f64 v[114:115], v[130:131], -v[114:115]
	s_waitcnt lgkmcnt(1)
	v_add_f64 v[130:131], v[124:125], v[104:105]
	v_add_f64 v[124:125], v[96:97], v[100:101]
	;; [unrolled: 1-line block ×3, first 2 shown]
	v_fmac_f64_e32 v[140:141], s[10:11], v[92:93]
	v_fmac_f64_e32 v[152:153], s[12:13], v[110:111]
	v_add_f64 v[112:113], v[128:129], -v[108:109]
	v_fma_f64 v[128:129], -0.5, v[124:125], v[20:21]
	v_add_f64 v[124:125], v[90:91], -v[106:107]
	v_add_f64 v[68:69], v[132:133], v[142:143]
	v_add_f64 v[64:65], v[136:137], v[144:145]
	;; [unrolled: 1-line block ×6, first 2 shown]
	v_add_f64 v[108:109], v[132:133], -v[142:143]
	v_add_f64 v[92:93], v[136:137], -v[144:145]
	v_add_f64 v[110:111], v[134:135], -v[150:151]
	v_add_f64 v[94:95], v[138:139], -v[118:119]
	v_add_f64 v[118:119], v[78:79], -v[140:141]
	v_add_f64 v[78:79], v[126:127], -v[152:153]
	v_fma_f64 v[134:135], s[4:5], v[124:125], v[128:129]
	v_add_f64 v[126:127], v[98:99], -v[102:103]
	v_add_f64 v[132:133], v[88:89], -v[96:97]
	;; [unrolled: 1-line block ×3, first 2 shown]
	v_fmac_f64_e32 v[128:129], s[10:11], v[124:125]
	v_fmac_f64_e32 v[134:135], s[2:3], v[126:127]
	v_add_f64 v[132:133], v[132:133], v[136:137]
	v_fmac_f64_e32 v[128:129], s[12:13], v[126:127]
	v_fmac_f64_e32 v[134:135], s[8:9], v[132:133]
	;; [unrolled: 1-line block ×3, first 2 shown]
	v_add_f64 v[132:133], v[88:89], v[104:105]
	v_fmac_f64_e32 v[20:21], -0.5, v[132:133]
	v_fma_f64 v[138:139], s[10:11], v[126:127], v[20:21]
	v_fmac_f64_e32 v[20:21], s[4:5], v[126:127]
	v_fmac_f64_e32 v[138:139], s[2:3], v[124:125]
	;; [unrolled: 1-line block ×3, first 2 shown]
	v_add_f64 v[124:125], v[22:23], v[90:91]
	v_add_f64 v[132:133], v[96:97], -v[88:89]
	v_add_f64 v[136:137], v[100:101], -v[104:105]
	v_add_f64 v[124:125], v[124:125], v[98:99]
	v_add_f64 v[132:133], v[132:133], v[136:137]
	;; [unrolled: 1-line block ×3, first 2 shown]
	v_fmac_f64_e32 v[138:139], s[8:9], v[132:133]
	v_fmac_f64_e32 v[20:21], s[8:9], v[132:133]
	v_add_f64 v[132:133], v[124:125], v[106:107]
	v_add_f64 v[124:125], v[98:99], v[102:103]
	v_fma_f64 v[126:127], -0.5, v[124:125], v[22:23]
	v_add_f64 v[88:89], v[88:89], -v[104:105]
	v_fma_f64 v[136:137], s[10:11], v[88:89], v[126:127]
	v_add_f64 v[96:97], v[96:97], -v[100:101]
	v_add_f64 v[100:101], v[90:91], -v[98:99]
	;; [unrolled: 1-line block ×3, first 2 shown]
	v_fmac_f64_e32 v[126:127], s[4:5], v[88:89]
	v_fmac_f64_e32 v[136:137], s[12:13], v[96:97]
	v_add_f64 v[100:101], v[100:101], v[104:105]
	v_fmac_f64_e32 v[126:127], s[2:3], v[96:97]
	v_fmac_f64_e32 v[136:137], s[8:9], v[100:101]
	;; [unrolled: 1-line block ×3, first 2 shown]
	v_add_f64 v[100:101], v[90:91], v[106:107]
	v_fmac_f64_e32 v[22:23], -0.5, v[100:101]
	v_fma_f64 v[140:141], s[4:5], v[96:97], v[22:23]
	v_fmac_f64_e32 v[22:23], s[10:11], v[96:97]
	v_fmac_f64_e32 v[140:141], s[12:13], v[88:89]
	;; [unrolled: 1-line block ×3, first 2 shown]
	v_add_f64 v[88:89], v[44:45], v[48:49]
	v_add_f64 v[88:89], v[88:89], v[52:53]
	;; [unrolled: 1-line block ×3, first 2 shown]
	v_add_f64 v[90:91], v[98:99], -v[90:91]
	v_add_f64 v[98:99], v[102:103], -v[106:107]
	s_waitcnt lgkmcnt(0)
	v_add_f64 v[96:97], v[88:89], v[60:61]
	v_add_f64 v[88:89], v[52:53], v[56:57]
	;; [unrolled: 1-line block ×3, first 2 shown]
	v_fma_f64 v[98:99], -0.5, v[88:89], v[44:45]
	v_add_f64 v[88:89], v[50:51], -v[62:63]
	v_fmac_f64_e32 v[140:141], s[8:9], v[90:91]
	v_fmac_f64_e32 v[22:23], s[8:9], v[90:91]
	v_fma_f64 v[90:91], s[4:5], v[88:89], v[98:99]
	v_add_f64 v[100:101], v[54:55], -v[58:59]
	v_add_f64 v[102:103], v[48:49], -v[52:53]
	;; [unrolled: 1-line block ×3, first 2 shown]
	v_fmac_f64_e32 v[98:99], s[10:11], v[88:89]
	v_fmac_f64_e32 v[90:91], s[2:3], v[100:101]
	v_add_f64 v[102:103], v[102:103], v[104:105]
	v_fmac_f64_e32 v[98:99], s[12:13], v[100:101]
	v_fmac_f64_e32 v[90:91], s[8:9], v[102:103]
	v_fmac_f64_e32 v[98:99], s[8:9], v[102:103]
	v_add_f64 v[102:103], v[48:49], v[60:61]
	v_fmac_f64_e32 v[44:45], -0.5, v[102:103]
	v_fma_f64 v[104:105], s[10:11], v[100:101], v[44:45]
	v_fmac_f64_e32 v[44:45], s[4:5], v[100:101]
	v_fmac_f64_e32 v[104:105], s[2:3], v[88:89]
	;; [unrolled: 1-line block ×3, first 2 shown]
	v_add_f64 v[88:89], v[46:47], v[50:51]
	v_add_f64 v[102:103], v[52:53], -v[48:49]
	v_add_f64 v[106:107], v[56:57], -v[60:61]
	v_add_f64 v[88:89], v[88:89], v[54:55]
	v_add_f64 v[102:103], v[102:103], v[106:107]
	v_add_f64 v[88:89], v[88:89], v[58:59]
	v_fmac_f64_e32 v[104:105], s[8:9], v[102:103]
	v_fmac_f64_e32 v[44:45], s[8:9], v[102:103]
	v_add_f64 v[102:103], v[88:89], v[62:63]
	v_add_f64 v[88:89], v[54:55], v[58:59]
	v_fma_f64 v[100:101], -0.5, v[88:89], v[46:47]
	v_add_f64 v[48:49], v[48:49], -v[60:61]
	v_fma_f64 v[106:107], s[10:11], v[48:49], v[100:101]
	v_add_f64 v[52:53], v[52:53], -v[56:57]
	v_add_f64 v[56:57], v[50:51], -v[54:55]
	v_add_f64 v[60:61], v[62:63], -v[58:59]
	v_fmac_f64_e32 v[100:101], s[4:5], v[48:49]
	v_fmac_f64_e32 v[106:107], s[12:13], v[52:53]
	v_add_f64 v[56:57], v[56:57], v[60:61]
	v_fmac_f64_e32 v[100:101], s[2:3], v[52:53]
	v_fmac_f64_e32 v[106:107], s[8:9], v[56:57]
	v_fmac_f64_e32 v[100:101], s[8:9], v[56:57]
	v_add_f64 v[56:57], v[50:51], v[62:63]
	v_fmac_f64_e32 v[46:47], -0.5, v[56:57]
	v_fma_f64 v[124:125], s[4:5], v[52:53], v[46:47]
	v_add_f64 v[50:51], v[54:55], -v[50:51]
	v_add_f64 v[54:55], v[58:59], -v[62:63]
	v_fmac_f64_e32 v[46:47], s[10:11], v[52:53]
	v_fmac_f64_e32 v[124:125], s[12:13], v[48:49]
	v_add_f64 v[50:51], v[50:51], v[54:55]
	v_fmac_f64_e32 v[46:47], s[2:3], v[48:49]
	v_mul_f64 v[142:143], v[90:91], s[18:19]
	v_mul_f64 v[150:151], v[90:91], s[12:13]
	v_fmac_f64_e32 v[124:125], s[8:9], v[50:51]
	v_fmac_f64_e32 v[46:47], s[8:9], v[50:51]
	;; [unrolled: 1-line block ×4, first 2 shown]
	v_mul_f64 v[106:107], v[104:105], s[10:11]
	v_mul_f64 v[144:145], v[124:125], s[4:5]
	v_fmac_f64_e32 v[106:107], s[8:9], v[124:125]
	v_mul_f64 v[152:153], v[46:47], s[16:17]
	v_mul_f64 v[124:125], v[100:101], s[14:15]
	;; [unrolled: 1-line block ×4, first 2 shown]
	v_fmac_f64_e32 v[152:153], s[10:11], v[44:45]
	v_fmac_f64_e32 v[124:125], s[12:13], v[98:99]
	s_barrier
	ds_write_b128 v173, v[8:11]
	ds_write_b128 v173, v[4:7] offset:16
	ds_write_b128 v173, v[0:3] offset:32
	;; [unrolled: 1-line block ×9, first 2 shown]
	v_mul_u32_u24_e32 v0, 10, v120
	v_fmac_f64_e32 v[144:145], s[8:9], v[104:105]
	v_fmac_f64_e32 v[146:147], s[4:5], v[46:47]
	;; [unrolled: 1-line block ×3, first 2 shown]
	v_add_f64 v[50:51], v[140:141], v[106:107]
	v_add_f64 v[90:91], v[22:23], v[152:153]
	;; [unrolled: 1-line block ×3, first 2 shown]
	v_add_f64 v[46:47], v[140:141], -v[106:107]
	v_add_f64 v[106:107], v[22:23], -v[152:153]
	;; [unrolled: 1-line block ×3, first 2 shown]
	v_lshlrev_b32_e32 v174, 4, v0
	v_mul_u32_u24_e32 v0, 10, v122
	v_mov_b64_e32 v[126:127], s[6:7]
	v_add_f64 v[56:57], v[130:131], v[96:97]
	v_add_f64 v[52:53], v[134:135], v[142:143]
	;; [unrolled: 1-line block ×7, first 2 shown]
	v_add_f64 v[100:101], v[130:131], -v[96:97]
	v_add_f64 v[96:97], v[134:135], -v[142:143]
	;; [unrolled: 1-line block ×7, first 2 shown]
	v_lshlrev_b32_e32 v250, 4, v0
	v_mad_u64_u32 v[128:129], s[38:39], v123, s23, v[126:127]
	ds_write_b128 v174, v[72:75]
	ds_write_b128 v174, v[68:71] offset:16
	ds_write_b128 v174, v[64:67] offset:32
	;; [unrolled: 1-line block ×9, first 2 shown]
	ds_write_b128 v250, v[56:59]
	ds_write_b128 v250, v[52:55] offset:16
	ds_write_b128 v250, v[48:51] offset:32
	ds_write_b128 v250, v[88:91] offset:48
	ds_write_b128 v250, v[60:63] offset:64
	ds_write_b128 v250, v[100:103] offset:80
	ds_write_b128 v250, v[96:99] offset:96
	ds_write_b128 v250, v[44:47] offset:112
	ds_write_b128 v250, v[104:107] offset:128
	ds_write_b128 v250, v[20:23] offset:144
	s_waitcnt lgkmcnt(0)
	s_barrier
	ds_read_b128 v[40:43], v244
	ds_read_b128 v[116:119], v244 offset:5760
	ds_read_b128 v[112:115], v244 offset:11520
	;; [unrolled: 1-line block ×29, first 2 shown]
	global_load_dwordx4 v[140:143], v[128:129], off offset:48
	global_load_dwordx4 v[136:139], v[128:129], off offset:32
	;; [unrolled: 1-line block ×3, first 2 shown]
	global_load_dwordx4 v[148:151], v[128:129], off
	s_movk_i32 s38, 0x50
	s_movk_i32 s39, 0x63
	s_waitcnt vmcnt(3) lgkmcnt(14)
	v_mul_f64 v[152:153], v[104:105], v[142:143]
	v_fmac_f64_e32 v[152:153], v[106:107], v[140:141]
	s_waitcnt vmcnt(1)
	v_accvgpr_write_b32 a134, v144
	s_waitcnt vmcnt(0)
	v_mul_f64 v[124:125], v[118:119], v[150:151]
	v_accvgpr_write_b32 a138, v148
	v_fma_f64 v[132:133], v[116:117], v[148:149], -v[124:125]
	v_mul_f64 v[134:135], v[116:117], v[150:151]
	v_accvgpr_write_b32 a139, v149
	v_accvgpr_write_b32 a140, v150
	;; [unrolled: 1-line block ×3, first 2 shown]
	v_mul_f64 v[116:117], v[114:115], v[146:147]
	v_mul_f64 v[150:151], v[112:113], v[146:147]
	v_fma_f64 v[154:155], v[112:113], v[144:145], -v[116:117]
	v_fmac_f64_e32 v[150:151], v[114:115], v[144:145]
	v_mov_b64_e32 v[114:115], v[136:137]
	v_mov_b64_e32 v[116:117], v[138:139]
	v_mul_f64 v[112:113], v[110:111], v[116:117]
	v_fma_f64 v[138:139], v[108:109], v[114:115], -v[112:113]
	v_mul_f64 v[136:137], v[108:109], v[116:117]
	v_accvgpr_write_b32 a133, v117
	v_mul_f64 v[108:109], v[106:107], v[142:143]
	v_fmac_f64_e32 v[134:135], v[118:119], v[148:149]
	v_accvgpr_write_b32 a135, v145
	v_accvgpr_write_b32 a136, v146
	;; [unrolled: 1-line block ×3, first 2 shown]
	v_fmac_f64_e32 v[136:137], v[110:111], v[114:115]
	v_accvgpr_write_b32 a132, v116
	v_accvgpr_write_b32 a131, v115
	;; [unrolled: 1-line block ×3, first 2 shown]
	v_fma_f64 v[156:157], v[104:105], v[140:141], -v[108:109]
	global_load_dwordx4 v[106:109], v[128:129], off offset:112
	global_load_dwordx4 v[110:113], v[128:129], off offset:96
	;; [unrolled: 1-line block ×4, first 2 shown]
	v_accvgpr_write_b32 a126, v140
	v_accvgpr_write_b32 a127, v141
	;; [unrolled: 1-line block ×4, first 2 shown]
	s_waitcnt vmcnt(3)
	v_mul_f64 v[162:163], v[88:89], v[108:109]
	s_waitcnt vmcnt(2)
	v_mul_f64 v[142:143], v[92:93], v[112:113]
	;; [unrolled: 2-line block ×4, first 2 shown]
	v_fma_f64 v[144:145], v[100:101], v[146:147], -v[104:105]
	v_mul_f64 v[140:141], v[100:101], v[148:149]
	v_mul_f64 v[100:101], v[98:99], v[116:117]
	v_accvgpr_write_b32 a157, v149
	v_fma_f64 v[164:165], v[96:97], v[114:115], -v[100:101]
	v_mul_f64 v[96:97], v[94:95], v[112:113]
	v_accvgpr_write_b32 a156, v148
	v_accvgpr_write_b32 a155, v147
	;; [unrolled: 1-line block ×3, first 2 shown]
	v_fma_f64 v[148:149], v[92:93], v[110:111], -v[96:97]
	v_mul_f64 v[92:93], v[90:91], v[108:109]
	v_fma_f64 v[166:167], v[88:89], v[106:107], -v[92:93]
	v_fmac_f64_e32 v[162:163], v[90:91], v[106:107]
	global_load_dwordx4 v[90:93], v[128:129], off offset:128
	v_fmac_f64_e32 v[140:141], v[102:103], v[146:147]
	v_fmac_f64_e32 v[124:125], v[98:99], v[114:115]
	v_fmac_f64_e32 v[142:143], v[94:95], v[110:111]
	v_accvgpr_write_b32 a145, v109
	v_accvgpr_write_b32 a144, v108
	v_accvgpr_write_b32 a143, v107
	v_accvgpr_write_b32 a142, v106
	v_accvgpr_write_b32 a149, v113
	v_accvgpr_write_b32 a148, v112
	v_accvgpr_write_b32 a147, v111
	v_accvgpr_write_b32 a146, v110
	v_accvgpr_write_b32 a153, v117
	v_accvgpr_write_b32 a152, v116
	v_accvgpr_write_b32 a151, v115
	v_accvgpr_write_b32 a150, v114
	s_waitcnt vmcnt(0)
	v_mul_f64 v[88:89], v[86:87], v[92:93]
	v_fma_f64 v[160:161], v[84:85], v[90:91], -v[88:89]
	v_mul_f64 v[158:159], v[84:85], v[92:93]
	v_mul_lo_u16_sdwa v84, v120, s22 dst_sel:DWORD dst_unused:UNUSED_PAD src0_sel:BYTE_0 src1_sel:DWORD
	v_lshrrev_b16_e32 v147, 11, v84
	v_mul_lo_u16_e32 v84, 10, v147
	v_sub_u16_e32 v84, v120, v84
	v_and_b32_e32 v170, 0xff, v84
	v_accvgpr_write_b32 a161, v93
	v_mad_u64_u32 v[84:85], s[22:23], v170, s23, v[126:127]
	v_fmac_f64_e32 v[158:159], v[86:87], v[90:91]
	v_accvgpr_write_b32 a160, v92
	v_accvgpr_write_b32 a159, v91
	v_accvgpr_write_b32 a158, v90
	global_load_dwordx4 v[88:91], v[84:85], off offset:48
	global_load_dwordx4 v[92:95], v[84:85], off offset:32
	;; [unrolled: 1-line block ×3, first 2 shown]
	global_load_dwordx4 v[100:103], v[84:85], off
	s_mov_b32 s22, 0xcccd
	s_waitcnt vmcnt(3)
	v_accvgpr_write_b32 a221, v91
	s_waitcnt vmcnt(2)
	v_accvgpr_write_b32 a225, v95
	;; [unrolled: 2-line block ×3, first 2 shown]
	s_waitcnt vmcnt(0)
	v_mul_f64 v[86:87], v[82:83], v[102:103]
	v_fma_f64 v[128:129], v[80:81], v[100:101], -v[86:87]
	v_mul_f64 v[80:81], v[80:81], v[102:103]
	v_fmac_f64_e32 v[80:81], v[82:83], v[100:101]
	v_mul_f64 v[82:83], v[78:79], v[98:99]
	v_fma_f64 v[130:131], v[76:77], v[96:97], -v[82:83]
	v_mul_f64 v[82:83], v[76:77], v[98:99]
	v_mul_f64 v[76:77], v[74:75], v[94:95]
	v_fma_f64 v[76:77], v[72:73], v[92:93], -v[76:77]
	v_mul_f64 v[72:73], v[72:73], v[94:95]
	v_fmac_f64_e32 v[72:73], v[74:75], v[92:93]
	v_mul_f64 v[74:75], v[70:71], v[90:91]
	v_accvgpr_write_b32 a233, v103
	v_fmac_f64_e32 v[82:83], v[78:79], v[96:97]
	v_fma_f64 v[78:79], v[68:69], v[88:89], -v[74:75]
	v_mul_f64 v[74:75], v[68:69], v[90:91]
	v_accvgpr_write_b32 a232, v102
	v_accvgpr_write_b32 a231, v101
	;; [unrolled: 1-line block ×9, first 2 shown]
	v_fmac_f64_e32 v[74:75], v[70:71], v[88:89]
	v_accvgpr_write_b32 a220, v90
	v_accvgpr_write_b32 a219, v89
	;; [unrolled: 1-line block ×3, first 2 shown]
	global_load_dwordx4 v[86:89], v[84:85], off offset:112
	global_load_dwordx4 v[90:93], v[84:85], off offset:96
	global_load_dwordx4 v[94:97], v[84:85], off offset:80
	global_load_dwordx4 v[98:101], v[84:85], off offset:64
	s_waitcnt vmcnt(3)
	v_accvgpr_write_b32 a181, v89
	v_accvgpr_write_b32 a180, v88
	;; [unrolled: 1-line block ×3, first 2 shown]
	s_waitcnt vmcnt(0)
	v_mul_f64 v[68:69], v[66:67], v[100:101]
	v_fma_f64 v[68:69], v[64:65], v[98:99], -v[68:69]
	v_mul_f64 v[64:65], v[64:65], v[100:101]
	v_fmac_f64_e32 v[64:65], v[66:67], v[98:99]
	s_waitcnt lgkmcnt(13)
	v_mul_f64 v[66:67], v[62:63], v[96:97]
	v_fma_f64 v[70:71], v[60:61], v[94:95], -v[66:67]
	v_mul_f64 v[66:67], v[60:61], v[96:97]
	s_waitcnt lgkmcnt(12)
	v_mul_f64 v[60:61], v[58:59], v[92:93]
	v_fma_f64 v[60:61], v[56:57], v[90:91], -v[60:61]
	v_mul_f64 v[56:57], v[56:57], v[92:93]
	v_fmac_f64_e32 v[56:57], v[58:59], v[90:91]
	s_waitcnt lgkmcnt(11)
	v_mul_f64 v[58:59], v[54:55], v[88:89]
	v_fmac_f64_e32 v[66:67], v[62:63], v[94:95]
	v_fma_f64 v[62:63], v[52:53], v[86:87], -v[58:59]
	v_mul_f64 v[58:59], v[52:53], v[88:89]
	v_fmac_f64_e32 v[58:59], v[54:55], v[86:87]
	v_accvgpr_write_b32 a178, v86
	global_load_dwordx4 v[84:87], v[84:85], off offset:128
	v_accvgpr_write_b32 a209, v97
	v_accvgpr_write_b32 a193, v93
	;; [unrolled: 1-line block ×12, first 2 shown]
	s_waitcnt vmcnt(0) lgkmcnt(10)
	v_mul_f64 v[52:53], v[50:51], v[86:87]
	v_fma_f64 v[52:53], v[48:49], v[84:85], -v[52:53]
	v_mul_f64 v[48:49], v[48:49], v[86:87]
	v_fmac_f64_e32 v[48:49], v[50:51], v[84:85]
	v_mul_u32_u24_sdwa v50, v122, s22 dst_sel:DWORD dst_unused:UNUSED_PAD src0_sel:WORD_0 src1_sel:DWORD
	v_lshrrev_b32_e32 v146, 19, v50
	v_mul_lo_u16_e32 v50, 10, v146
	v_sub_u16_e32 v169, v122, v50
	v_mul_lo_u16_e32 v50, 0x90, v169
	v_mov_b32_e32 v51, v245
	v_accvgpr_write_b32 a173, v87
	v_lshl_add_u64 v[50:51], s[6:7], 0, v[50:51]
	v_accvgpr_write_b32 a172, v86
	v_accvgpr_write_b32 a171, v85
	;; [unrolled: 1-line block ×3, first 2 shown]
	global_load_dwordx4 v[86:89], v[50:51], off offset:48
	global_load_dwordx4 v[90:93], v[50:51], off offset:32
	;; [unrolled: 1-line block ×3, first 2 shown]
	global_load_dwordx4 v[104:107], v[50:51], off
	s_movk_i32 s22, 0x64
	v_cmp_gt_u16_e32 vcc, s22, v172
	s_waitcnt vmcnt(3)
	v_accvgpr_write_b32 a189, v89
	v_accvgpr_write_b32 a188, v88
	;; [unrolled: 1-line block ×3, first 2 shown]
	s_waitcnt vmcnt(0) lgkmcnt(8)
	v_mul_f64 v[54:55], v[46:47], v[106:107]
	v_fma_f64 v[98:99], v[44:45], v[104:105], -v[54:55]
	v_mul_f64 v[102:103], v[44:45], v[106:107]
	s_waitcnt lgkmcnt(7)
	v_mul_f64 v[44:45], v[38:39], v[96:97]
	v_fmac_f64_e32 v[102:103], v[46:47], v[104:105]
	v_fma_f64 v[112:113], v[36:37], v[94:95], -v[44:45]
	v_mov_b64_e32 v[44:45], v[90:91]
	v_accvgpr_write_b32 a213, v107
	v_mov_b64_e32 v[46:47], v[92:93]
	v_accvgpr_write_b32 a212, v106
	v_accvgpr_write_b32 a211, v105
	;; [unrolled: 1-line block ×3, first 2 shown]
	v_mul_f64 v[104:105], v[36:37], v[96:97]
	s_waitcnt lgkmcnt(6)
	v_mul_f64 v[36:37], v[34:35], v[46:47]
	v_fma_f64 v[92:93], v[32:33], v[44:45], -v[36:37]
	v_mul_f64 v[84:85], v[32:33], v[46:47]
	v_accvgpr_write_b32 a197, v47
	s_waitcnt lgkmcnt(5)
	v_mul_f64 v[32:33], v[30:31], v[88:89]
	v_mul_f64 v[106:107], v[28:29], v[88:89]
	v_fmac_f64_e32 v[84:85], v[34:35], v[44:45]
	v_accvgpr_write_b32 a196, v46
	v_accvgpr_write_b32 a195, v45
	;; [unrolled: 1-line block ×3, first 2 shown]
	v_fma_f64 v[114:115], v[28:29], v[86:87], -v[32:33]
	v_fmac_f64_e32 v[106:107], v[30:31], v[86:87]
	v_accvgpr_write_b32 a186, v86
	global_load_dwordx4 v[30:33], v[50:51], off offset:112
	global_load_dwordx4 v[34:37], v[50:51], off offset:96
	;; [unrolled: 1-line block ×4, first 2 shown]
	v_accvgpr_write_b32 a205, v97
	v_fmac_f64_e32 v[104:105], v[38:39], v[94:95]
	v_accvgpr_write_b32 a204, v96
	v_accvgpr_write_b32 a203, v95
	;; [unrolled: 1-line block ×3, first 2 shown]
	s_waitcnt vmcnt(3) lgkmcnt(1)
	v_mul_f64 v[110:111], v[12:13], v[32:33]
	v_fmac_f64_e32 v[110:111], v[14:15], v[30:31]
	s_waitcnt vmcnt(1)
	v_mul_f64 v[108:109], v[20:21], v[46:47]
	s_waitcnt vmcnt(0)
	v_mul_f64 v[28:29], v[26:27], v[90:91]
	v_fma_f64 v[94:95], v[24:25], v[88:89], -v[28:29]
	v_mul_f64 v[86:87], v[24:25], v[90:91]
	v_mul_f64 v[24:25], v[22:23], v[46:47]
	v_accvgpr_write_b32 a201, v91
	v_fma_f64 v[116:117], v[20:21], v[44:45], -v[24:25]
	v_mul_f64 v[20:21], v[18:19], v[36:37]
	v_fmac_f64_e32 v[86:87], v[26:27], v[88:89]
	v_accvgpr_write_b32 a200, v90
	v_accvgpr_write_b32 a199, v89
	;; [unrolled: 1-line block ×3, first 2 shown]
	v_fma_f64 v[96:97], v[16:17], v[34:35], -v[20:21]
	v_mul_f64 v[88:89], v[16:17], v[36:37]
	v_mul_f64 v[16:17], v[14:15], v[32:33]
	v_fma_f64 v[118:119], v[12:13], v[30:31], -v[16:17]
	global_load_dwordx4 v[14:17], v[50:51], off offset:128
	v_accvgpr_write_b32 a169, v33
	v_accvgpr_write_b32 a168, v32
	;; [unrolled: 1-line block ×5, first 2 shown]
	v_fmac_f64_e32 v[88:89], v[18:19], v[34:35]
	v_accvgpr_write_b32 a176, v36
	v_accvgpr_write_b32 a175, v35
	;; [unrolled: 1-line block ×7, first 2 shown]
	v_fmac_f64_e32 v[108:109], v[22:23], v[44:45]
	v_add_f64 v[18:19], v[158:159], -v[142:143]
	s_waitcnt lgkmcnt(0)
	s_barrier
	s_waitcnt vmcnt(0)
	v_mul_f64 v[12:13], v[10:11], v[16:17]
	v_fma_f64 v[100:101], v[8:9], v[14:15], -v[12:13]
	v_mul_f64 v[90:91], v[8:9], v[16:17]
	v_add_f64 v[8:9], v[40:41], v[154:155]
	v_add_f64 v[8:9], v[8:9], v[156:157]
	;; [unrolled: 1-line block ×5, first 2 shown]
	v_accvgpr_write_b32 a165, v17
	v_fma_f64 v[30:31], -0.5, v[8:9], v[40:41]
	v_add_f64 v[8:9], v[150:151], -v[162:163]
	v_fmac_f64_e32 v[90:91], v[10:11], v[14:15]
	v_accvgpr_write_b32 a164, v16
	v_accvgpr_write_b32 a163, v15
	;; [unrolled: 1-line block ×3, first 2 shown]
	v_fma_f64 v[32:33], s[4:5], v[8:9], v[30:31]
	v_add_f64 v[10:11], v[152:153], -v[124:125]
	v_add_f64 v[12:13], v[154:155], -v[156:157]
	v_add_f64 v[14:15], v[166:167], -v[164:165]
	v_fmac_f64_e32 v[30:31], s[10:11], v[8:9]
	v_fmac_f64_e32 v[32:33], s[2:3], v[10:11]
	v_add_f64 v[12:13], v[12:13], v[14:15]
	v_fmac_f64_e32 v[30:31], s[12:13], v[10:11]
	v_fmac_f64_e32 v[32:33], s[8:9], v[12:13]
	v_fmac_f64_e32 v[30:31], s[8:9], v[12:13]
	v_add_f64 v[12:13], v[154:155], v[166:167]
	v_fmac_f64_e32 v[40:41], -0.5, v[12:13]
	v_fma_f64 v[38:39], s[10:11], v[10:11], v[40:41]
	v_fmac_f64_e32 v[40:41], s[4:5], v[10:11]
	v_fmac_f64_e32 v[38:39], s[2:3], v[8:9]
	v_fmac_f64_e32 v[40:41], s[12:13], v[8:9]
	v_add_f64 v[8:9], v[42:43], v[150:151]
	v_add_f64 v[8:9], v[8:9], v[152:153]
	v_add_f64 v[8:9], v[8:9], v[124:125]
	v_add_f64 v[12:13], v[156:157], -v[154:155]
	v_add_f64 v[14:15], v[164:165], -v[166:167]
	v_add_f64 v[34:35], v[8:9], v[162:163]
	v_add_f64 v[8:9], v[152:153], v[124:125]
	v_add_f64 v[12:13], v[12:13], v[14:15]
	v_fma_f64 v[50:51], -0.5, v[8:9], v[42:43]
	v_add_f64 v[8:9], v[154:155], -v[166:167]
	v_fmac_f64_e32 v[38:39], s[8:9], v[12:13]
	v_fmac_f64_e32 v[40:41], s[8:9], v[12:13]
	v_fma_f64 v[46:47], s[10:11], v[8:9], v[50:51]
	v_add_f64 v[10:11], v[156:157], -v[164:165]
	v_add_f64 v[12:13], v[150:151], -v[152:153]
	v_add_f64 v[14:15], v[162:163], -v[124:125]
	v_fmac_f64_e32 v[50:51], s[4:5], v[8:9]
	v_fmac_f64_e32 v[46:47], s[12:13], v[10:11]
	v_add_f64 v[12:13], v[12:13], v[14:15]
	v_fmac_f64_e32 v[50:51], s[2:3], v[10:11]
	v_fmac_f64_e32 v[46:47], s[8:9], v[12:13]
	v_fmac_f64_e32 v[50:51], s[8:9], v[12:13]
	v_add_f64 v[12:13], v[150:151], v[162:163]
	v_fmac_f64_e32 v[42:43], -0.5, v[12:13]
	v_fma_f64 v[54:55], s[4:5], v[10:11], v[42:43]
	v_fmac_f64_e32 v[42:43], s[10:11], v[10:11]
	v_fmac_f64_e32 v[54:55], s[12:13], v[8:9]
	v_fmac_f64_e32 v[42:43], s[2:3], v[8:9]
	v_add_f64 v[8:9], v[132:133], v[138:139]
	v_add_f64 v[8:9], v[8:9], v[144:145]
	v_add_f64 v[8:9], v[8:9], v[148:149]
	v_add_f64 v[12:13], v[152:153], -v[150:151]
	v_add_f64 v[14:15], v[124:125], -v[162:163]
	v_add_f64 v[36:37], v[8:9], v[160:161]
	v_add_f64 v[8:9], v[144:145], v[148:149]
	v_add_f64 v[12:13], v[12:13], v[14:15]
	v_fma_f64 v[22:23], -0.5, v[8:9], v[132:133]
	v_add_f64 v[8:9], v[136:137], -v[158:159]
	v_fmac_f64_e32 v[54:55], s[8:9], v[12:13]
	v_fmac_f64_e32 v[42:43], s[8:9], v[12:13]
	;; [unrolled: 28-line block ×3, first 2 shown]
	v_fma_f64 v[14:15], s[10:11], v[8:9], v[44:45]
	v_add_f64 v[12:13], v[144:145], -v[148:149]
	v_add_f64 v[16:17], v[136:137], -v[140:141]
	v_fmac_f64_e32 v[44:45], s[4:5], v[8:9]
	v_fmac_f64_e32 v[14:15], s[12:13], v[12:13]
	v_add_f64 v[16:17], v[16:17], v[18:19]
	v_fmac_f64_e32 v[44:45], s[2:3], v[12:13]
	v_fmac_f64_e32 v[14:15], s[8:9], v[16:17]
	;; [unrolled: 1-line block ×3, first 2 shown]
	v_add_f64 v[16:17], v[136:137], v[158:159]
	v_fmac_f64_e32 v[134:135], -0.5, v[16:17]
	v_fma_f64 v[138:139], s[4:5], v[12:13], v[134:135]
	v_add_f64 v[16:17], v[140:141], -v[136:137]
	v_add_f64 v[18:19], v[142:143], -v[158:159]
	v_fmac_f64_e32 v[134:135], s[10:11], v[12:13]
	v_add_f64 v[16:17], v[16:17], v[18:19]
	v_fmac_f64_e32 v[134:135], s[2:3], v[8:9]
	v_fmac_f64_e32 v[138:139], s[12:13], v[8:9]
	;; [unrolled: 1-line block ×3, first 2 shown]
	v_mul_f64 v[142:143], v[132:133], s[16:17]
	v_fmac_f64_e32 v[138:139], s[8:9], v[16:17]
	v_fmac_f64_e32 v[142:143], s[4:5], v[134:135]
	v_mul_f64 v[134:135], v[134:135], s[16:17]
	v_mul_f64 v[140:141], v[138:139], s[4:5]
	v_mul_f64 v[148:149], v[10:11], s[12:13]
	v_fmac_f64_e32 v[134:135], s[10:11], v[132:133]
	v_mul_f64 v[132:133], v[44:45], s[14:15]
	v_fmac_f64_e32 v[140:141], s[8:9], v[26:27]
	v_fmac_f64_e32 v[148:149], s[18:19], v[14:15]
	;; [unrolled: 1-line block ×3, first 2 shown]
	v_add_f64 v[16:17], v[28:29], v[36:37]
	v_mul_f64 v[136:137], v[14:15], s[2:3]
	v_add_f64 v[8:9], v[38:39], v[140:141]
	v_mul_f64 v[144:145], v[22:23], s[14:15]
	v_add_f64 v[18:19], v[34:35], v[124:125]
	v_add_f64 v[14:15], v[46:47], v[148:149]
	v_mul_f64 v[150:151], v[26:27], s[10:11]
	v_add_f64 v[26:27], v[42:43], v[134:135]
	v_add_f64 v[22:23], v[50:51], v[132:133]
	v_add_f64 v[36:37], v[28:29], -v[36:37]
	v_add_f64 v[28:29], v[38:39], -v[140:141]
	v_add_f64 v[38:39], v[34:35], -v[124:125]
	v_add_f64 v[34:35], v[46:47], -v[148:149]
	v_add_f64 v[46:47], v[42:43], -v[134:135]
	v_add_f64 v[42:43], v[50:51], -v[132:133]
	v_add_f64 v[50:51], v[4:5], v[130:131]
	v_add_f64 v[50:51], v[50:51], v[78:79]
	;; [unrolled: 1-line block ×5, first 2 shown]
	v_fmac_f64_e32 v[136:137], s[18:19], v[10:11]
	v_fmac_f64_e32 v[144:145], s[2:3], v[44:45]
	;; [unrolled: 1-line block ×3, first 2 shown]
	v_fma_f64 v[132:133], -0.5, v[50:51], v[4:5]
	v_add_f64 v[50:51], v[82:83], -v[58:59]
	v_add_f64 v[12:13], v[32:33], v[136:137]
	v_add_f64 v[24:25], v[40:41], v[142:143]
	v_add_f64 v[20:21], v[30:31], v[144:145]
	v_add_f64 v[10:11], v[54:55], v[150:151]
	v_add_f64 v[32:33], v[32:33], -v[136:137]
	v_add_f64 v[44:45], v[40:41], -v[142:143]
	;; [unrolled: 1-line block ×4, first 2 shown]
	v_fma_f64 v[134:135], s[4:5], v[50:51], v[132:133]
	v_add_f64 v[54:55], v[74:75], -v[66:67]
	v_add_f64 v[136:137], v[130:131], -v[78:79]
	;; [unrolled: 1-line block ×3, first 2 shown]
	v_fmac_f64_e32 v[132:133], s[10:11], v[50:51]
	v_fmac_f64_e32 v[134:135], s[2:3], v[54:55]
	v_add_f64 v[136:137], v[136:137], v[138:139]
	v_fmac_f64_e32 v[132:133], s[12:13], v[54:55]
	v_fmac_f64_e32 v[134:135], s[8:9], v[136:137]
	;; [unrolled: 1-line block ×3, first 2 shown]
	v_add_f64 v[136:137], v[130:131], v[62:63]
	v_fmac_f64_e32 v[4:5], -0.5, v[136:137]
	v_fma_f64 v[140:141], s[10:11], v[54:55], v[4:5]
	v_fmac_f64_e32 v[4:5], s[4:5], v[54:55]
	v_fmac_f64_e32 v[140:141], s[2:3], v[50:51]
	;; [unrolled: 1-line block ×3, first 2 shown]
	v_add_f64 v[50:51], v[6:7], v[82:83]
	v_add_f64 v[136:137], v[78:79], -v[130:131]
	v_add_f64 v[138:139], v[70:71], -v[62:63]
	v_add_f64 v[50:51], v[50:51], v[74:75]
	v_add_f64 v[136:137], v[136:137], v[138:139]
	;; [unrolled: 1-line block ×3, first 2 shown]
	v_fmac_f64_e32 v[140:141], s[8:9], v[136:137]
	v_fmac_f64_e32 v[4:5], s[8:9], v[136:137]
	v_add_f64 v[136:137], v[50:51], v[58:59]
	v_add_f64 v[50:51], v[74:75], v[66:67]
	v_fma_f64 v[138:139], -0.5, v[50:51], v[6:7]
	v_add_f64 v[50:51], v[130:131], -v[62:63]
	v_fma_f64 v[130:131], s[10:11], v[50:51], v[138:139]
	v_add_f64 v[54:55], v[78:79], -v[70:71]
	v_add_f64 v[62:63], v[82:83], -v[74:75]
	;; [unrolled: 1-line block ×3, first 2 shown]
	v_fmac_f64_e32 v[138:139], s[4:5], v[50:51]
	v_fmac_f64_e32 v[130:131], s[12:13], v[54:55]
	v_add_f64 v[62:63], v[62:63], v[70:71]
	v_fmac_f64_e32 v[138:139], s[2:3], v[54:55]
	v_fmac_f64_e32 v[130:131], s[8:9], v[62:63]
	;; [unrolled: 1-line block ×3, first 2 shown]
	v_add_f64 v[62:63], v[82:83], v[58:59]
	v_fmac_f64_e32 v[6:7], -0.5, v[62:63]
	v_fma_f64 v[70:71], s[4:5], v[54:55], v[6:7]
	v_fmac_f64_e32 v[6:7], s[10:11], v[54:55]
	v_fmac_f64_e32 v[70:71], s[12:13], v[50:51]
	;; [unrolled: 1-line block ×3, first 2 shown]
	v_add_f64 v[50:51], v[128:129], v[76:77]
	v_add_f64 v[50:51], v[50:51], v[68:69]
	v_add_f64 v[50:51], v[50:51], v[60:61]
	v_add_f64 v[62:63], v[74:75], -v[82:83]
	v_add_f64 v[58:59], v[66:67], -v[58:59]
	v_add_f64 v[74:75], v[50:51], v[52:53]
	v_add_f64 v[50:51], v[68:69], v[60:61]
	;; [unrolled: 1-line block ×3, first 2 shown]
	v_fma_f64 v[62:63], -0.5, v[50:51], v[128:129]
	v_add_f64 v[50:51], v[72:73], -v[48:49]
	v_fmac_f64_e32 v[70:71], s[8:9], v[58:59]
	v_fmac_f64_e32 v[6:7], s[8:9], v[58:59]
	v_fma_f64 v[54:55], s[4:5], v[50:51], v[62:63]
	v_add_f64 v[58:59], v[64:65], -v[56:57]
	v_add_f64 v[66:67], v[76:77], -v[68:69]
	;; [unrolled: 1-line block ×3, first 2 shown]
	v_fmac_f64_e32 v[62:63], s[10:11], v[50:51]
	v_fmac_f64_e32 v[54:55], s[2:3], v[58:59]
	v_add_f64 v[66:67], v[66:67], v[78:79]
	v_fmac_f64_e32 v[62:63], s[12:13], v[58:59]
	v_fmac_f64_e32 v[54:55], s[8:9], v[66:67]
	;; [unrolled: 1-line block ×3, first 2 shown]
	v_add_f64 v[66:67], v[76:77], v[52:53]
	v_fmac_f64_e32 v[128:129], -0.5, v[66:67]
	v_fma_f64 v[66:67], s[10:11], v[58:59], v[128:129]
	v_fmac_f64_e32 v[128:129], s[4:5], v[58:59]
	v_fmac_f64_e32 v[66:67], s[2:3], v[50:51]
	;; [unrolled: 1-line block ×3, first 2 shown]
	v_add_f64 v[50:51], v[80:81], v[72:73]
	v_add_f64 v[78:79], v[68:69], -v[76:77]
	v_add_f64 v[82:83], v[60:61], -v[52:53]
	v_add_f64 v[50:51], v[50:51], v[64:65]
	v_add_f64 v[78:79], v[78:79], v[82:83]
	;; [unrolled: 1-line block ×3, first 2 shown]
	v_fmac_f64_e32 v[66:67], s[8:9], v[78:79]
	v_fmac_f64_e32 v[128:129], s[8:9], v[78:79]
	v_add_f64 v[78:79], v[50:51], v[48:49]
	v_add_f64 v[50:51], v[64:65], v[56:57]
	v_fma_f64 v[82:83], -0.5, v[50:51], v[80:81]
	v_add_f64 v[50:51], v[76:77], -v[52:53]
	v_fma_f64 v[76:77], s[10:11], v[50:51], v[82:83]
	v_add_f64 v[52:53], v[68:69], -v[60:61]
	v_add_f64 v[58:59], v[72:73], -v[64:65]
	;; [unrolled: 1-line block ×3, first 2 shown]
	v_fmac_f64_e32 v[82:83], s[4:5], v[50:51]
	v_fmac_f64_e32 v[76:77], s[12:13], v[52:53]
	v_add_f64 v[58:59], v[58:59], v[60:61]
	v_fmac_f64_e32 v[82:83], s[2:3], v[52:53]
	v_fmac_f64_e32 v[76:77], s[8:9], v[58:59]
	;; [unrolled: 1-line block ×3, first 2 shown]
	v_add_f64 v[58:59], v[72:73], v[48:49]
	v_fmac_f64_e32 v[80:81], -0.5, v[58:59]
	v_fma_f64 v[68:69], s[4:5], v[52:53], v[80:81]
	v_add_f64 v[58:59], v[64:65], -v[72:73]
	v_add_f64 v[48:49], v[56:57], -v[48:49]
	v_fmac_f64_e32 v[80:81], s[10:11], v[52:53]
	v_add_f64 v[48:49], v[58:59], v[48:49]
	v_fmac_f64_e32 v[80:81], s[2:3], v[50:51]
	v_fmac_f64_e32 v[80:81], s[8:9], v[48:49]
	;; [unrolled: 1-line block ×3, first 2 shown]
	v_mul_f64 v[154:155], v[80:81], s[16:17]
	v_fmac_f64_e32 v[68:69], s[8:9], v[48:49]
	v_mul_f64 v[144:145], v[128:129], s[16:17]
	v_fmac_f64_e32 v[154:155], s[10:11], v[128:129]
	v_mul_f64 v[128:129], v[82:83], s[14:15]
	v_mul_f64 v[142:143], v[68:69], s[4:5]
	;; [unrolled: 1-line block ×3, first 2 shown]
	v_fmac_f64_e32 v[128:129], s[12:13], v[62:63]
	v_mul_f64 v[72:73], v[76:77], s[2:3]
	v_fmac_f64_e32 v[142:143], s[8:9], v[66:67]
	v_fmac_f64_e32 v[144:145], s[4:5], v[80:81]
	;; [unrolled: 1-line block ×3, first 2 shown]
	v_mul_f64 v[150:151], v[54:55], s[12:13]
	v_mul_f64 v[152:153], v[66:67], s[10:11]
	v_add_f64 v[66:67], v[6:7], v[154:155]
	v_add_f64 v[62:63], v[138:139], v[128:129]
	v_add_f64 v[82:83], v[6:7], -v[154:155]
	v_add_f64 v[6:7], v[138:139], -v[128:129]
	v_add_f64 v[128:129], v[114:115], v[116:117]
	v_fmac_f64_e32 v[72:73], s[18:19], v[54:55]
	v_add_f64 v[64:65], v[4:5], v[144:145]
	v_add_f64 v[60:61], v[132:133], v[148:149]
	v_fmac_f64_e32 v[150:151], s[18:19], v[76:77]
	v_add_f64 v[80:81], v[4:5], -v[144:145]
	v_add_f64 v[4:5], v[132:133], -v[148:149]
	v_fma_f64 v[132:133], -0.5, v[128:129], v[0:1]
	v_add_f64 v[128:129], v[104:105], -v[110:111]
	v_add_f64 v[56:57], v[124:125], v[74:75]
	v_add_f64 v[52:53], v[134:135], v[72:73]
	;; [unrolled: 1-line block ×4, first 2 shown]
	v_add_f64 v[76:77], v[124:125], -v[74:75]
	v_add_f64 v[72:73], v[134:135], -v[72:73]
	;; [unrolled: 1-line block ×4, first 2 shown]
	v_fma_f64 v[134:135], s[4:5], v[128:129], v[132:133]
	v_add_f64 v[130:131], v[106:107], -v[108:109]
	v_add_f64 v[136:137], v[112:113], -v[114:115]
	;; [unrolled: 1-line block ×3, first 2 shown]
	v_fmac_f64_e32 v[132:133], s[10:11], v[128:129]
	v_fmac_f64_e32 v[134:135], s[2:3], v[130:131]
	v_add_f64 v[136:137], v[136:137], v[138:139]
	v_fmac_f64_e32 v[132:133], s[12:13], v[130:131]
	v_fmac_f64_e32 v[134:135], s[8:9], v[136:137]
	;; [unrolled: 1-line block ×3, first 2 shown]
	v_add_f64 v[136:137], v[112:113], v[118:119]
	v_add_f64 v[124:125], v[0:1], v[112:113]
	v_fmac_f64_e32 v[0:1], -0.5, v[136:137]
	v_fma_f64 v[138:139], s[10:11], v[130:131], v[0:1]
	v_fmac_f64_e32 v[0:1], s[4:5], v[130:131]
	v_fmac_f64_e32 v[138:139], s[2:3], v[128:129]
	;; [unrolled: 1-line block ×3, first 2 shown]
	v_add_f64 v[128:129], v[2:3], v[104:105]
	v_add_f64 v[48:49], v[140:141], v[142:143]
	v_fmac_f64_e32 v[152:153], s[8:9], v[68:69]
	v_add_f64 v[68:69], v[140:141], -v[142:143]
	v_add_f64 v[136:137], v[114:115], -v[112:113]
	v_add_f64 v[140:141], v[116:117], -v[118:119]
	v_add_f64 v[128:129], v[128:129], v[106:107]
	v_add_f64 v[136:137], v[136:137], v[140:141]
	;; [unrolled: 1-line block ×4, first 2 shown]
	v_fmac_f64_e32 v[138:139], s[8:9], v[136:137]
	v_fmac_f64_e32 v[0:1], s[8:9], v[136:137]
	v_add_f64 v[136:137], v[128:129], v[110:111]
	v_add_f64 v[128:129], v[106:107], v[108:109]
	;; [unrolled: 1-line block ×3, first 2 shown]
	v_fma_f64 v[128:129], -0.5, v[128:129], v[2:3]
	v_add_f64 v[112:113], v[112:113], -v[118:119]
	v_add_f64 v[124:125], v[124:125], v[118:119]
	v_fma_f64 v[118:119], s[10:11], v[112:113], v[128:129]
	v_add_f64 v[114:115], v[114:115], -v[116:117]
	v_add_f64 v[116:117], v[104:105], -v[106:107]
	v_add_f64 v[130:131], v[110:111], -v[108:109]
	v_fmac_f64_e32 v[128:129], s[4:5], v[112:113]
	v_fmac_f64_e32 v[118:119], s[12:13], v[114:115]
	v_add_f64 v[116:117], v[116:117], v[130:131]
	v_fmac_f64_e32 v[128:129], s[2:3], v[114:115]
	v_fmac_f64_e32 v[118:119], s[8:9], v[116:117]
	;; [unrolled: 1-line block ×3, first 2 shown]
	v_add_f64 v[116:117], v[104:105], v[110:111]
	v_add_f64 v[104:105], v[106:107], -v[104:105]
	v_add_f64 v[106:107], v[108:109], -v[110:111]
	v_fmac_f64_e32 v[2:3], -0.5, v[116:117]
	v_add_f64 v[104:105], v[104:105], v[106:107]
	v_add_f64 v[106:107], v[94:95], v[96:97]
	v_fma_f64 v[140:141], s[4:5], v[114:115], v[2:3]
	v_fmac_f64_e32 v[2:3], s[10:11], v[114:115]
	v_fma_f64 v[106:107], -0.5, v[106:107], v[98:99]
	v_add_f64 v[108:109], v[84:85], -v[90:91]
	v_fmac_f64_e32 v[140:141], s[12:13], v[112:113]
	v_fmac_f64_e32 v[2:3], s[2:3], v[112:113]
	v_fma_f64 v[110:111], s[4:5], v[108:109], v[106:107]
	v_add_f64 v[112:113], v[86:87], -v[88:89]
	v_add_f64 v[114:115], v[92:93], -v[94:95]
	;; [unrolled: 1-line block ×3, first 2 shown]
	v_fmac_f64_e32 v[106:107], s[10:11], v[108:109]
	v_fmac_f64_e32 v[110:111], s[2:3], v[112:113]
	v_add_f64 v[114:115], v[114:115], v[116:117]
	v_fmac_f64_e32 v[106:107], s[12:13], v[112:113]
	v_fmac_f64_e32 v[110:111], s[8:9], v[114:115]
	v_fmac_f64_e32 v[106:107], s[8:9], v[114:115]
	v_add_f64 v[114:115], v[92:93], v[100:101]
	v_fmac_f64_e32 v[140:141], s[8:9], v[104:105]
	v_fmac_f64_e32 v[2:3], s[8:9], v[104:105]
	v_add_f64 v[104:105], v[98:99], v[92:93]
	v_fmac_f64_e32 v[98:99], -0.5, v[114:115]
	v_fma_f64 v[114:115], s[10:11], v[112:113], v[98:99]
	v_fmac_f64_e32 v[98:99], s[4:5], v[112:113]
	v_fmac_f64_e32 v[114:115], s[2:3], v[108:109]
	;; [unrolled: 1-line block ×3, first 2 shown]
	v_add_f64 v[108:109], v[102:103], v[84:85]
	v_add_f64 v[108:109], v[108:109], v[86:87]
	;; [unrolled: 1-line block ×7, first 2 shown]
	v_add_f64 v[116:117], v[94:95], -v[92:93]
	v_fma_f64 v[108:109], -0.5, v[108:109], v[102:103]
	v_add_f64 v[92:93], v[92:93], -v[100:101]
	v_add_f64 v[104:105], v[104:105], v[100:101]
	v_add_f64 v[130:131], v[96:97], -v[100:101]
	v_fma_f64 v[112:113], s[10:11], v[92:93], v[108:109]
	v_add_f64 v[94:95], v[94:95], -v[96:97]
	v_add_f64 v[96:97], v[84:85], -v[86:87]
	;; [unrolled: 1-line block ×3, first 2 shown]
	v_fmac_f64_e32 v[108:109], s[4:5], v[92:93]
	v_fmac_f64_e32 v[112:113], s[12:13], v[94:95]
	v_add_f64 v[96:97], v[96:97], v[100:101]
	v_fmac_f64_e32 v[108:109], s[2:3], v[94:95]
	v_fmac_f64_e32 v[112:113], s[8:9], v[96:97]
	;; [unrolled: 1-line block ×3, first 2 shown]
	v_add_f64 v[96:97], v[84:85], v[90:91]
	v_add_f64 v[116:117], v[116:117], v[130:131]
	v_fmac_f64_e32 v[102:103], -0.5, v[96:97]
	v_fmac_f64_e32 v[114:115], s[8:9], v[116:117]
	v_fmac_f64_e32 v[98:99], s[8:9], v[116:117]
	v_fma_f64 v[116:117], s[4:5], v[94:95], v[102:103]
	v_add_f64 v[84:85], v[86:87], -v[84:85]
	v_add_f64 v[86:87], v[88:89], -v[90:91]
	v_fmac_f64_e32 v[102:103], s[10:11], v[94:95]
	v_fmac_f64_e32 v[116:117], s[12:13], v[92:93]
	v_add_f64 v[84:85], v[84:85], v[86:87]
	v_fmac_f64_e32 v[102:103], s[2:3], v[92:93]
	ds_write_b128 v252, v[16:19]
	ds_write_b128 v252, v[12:15] offset:160
	ds_write_b128 v252, v[8:11] offset:320
	;; [unrolled: 1-line block ×9, first 2 shown]
	v_mul_u32_u24_e32 v8, 0x64, v147
	v_fmac_f64_e32 v[116:117], s[8:9], v[84:85]
	v_fmac_f64_e32 v[102:103], s[8:9], v[84:85]
	v_mul_f64 v[144:145], v[112:113], s[2:3]
	v_add_lshl_u32 v251, v8, v170, 4
	v_add_f64 v[50:51], v[70:71], v[152:153]
	v_add_f64 v[70:71], v[70:71], -v[152:153]
	v_fmac_f64_e32 v[144:145], s[18:19], v[110:111]
	v_mul_f64 v[148:149], v[116:117], s[4:5]
	v_mul_f64 v[150:151], v[98:99], s[16:17]
	v_mul_f64 v[152:153], v[106:107], s[14:15]
	v_mul_f64 v[110:111], v[110:111], s[12:13]
	v_mul_f64 v[154:155], v[114:115], s[10:11]
	v_mul_f64 v[156:157], v[102:103], s[16:17]
	v_mul_f64 v[130:131], v[108:109], s[14:15]
	ds_write_b128 v251, v[56:59]
	ds_write_b128 v251, v[52:55] offset:160
	ds_write_b128 v251, v[48:51] offset:320
	;; [unrolled: 1-line block ×9, first 2 shown]
	v_mad_legacy_u16 v4, v146, s22, v169
	v_cndmask_b32_e32 v146, v121, v172, vcc
	v_add_f64 v[92:93], v[124:125], v[104:105]
	v_fmac_f64_e32 v[148:149], s[8:9], v[114:115]
	v_fmac_f64_e32 v[150:151], s[4:5], v[102:103]
	;; [unrolled: 1-line block ×7, first 2 shown]
	v_add_f64 v[112:113], v[124:125], -v[104:105]
	v_mul_hi_i32_i24_e32 v125, 0x50, v146
	v_mul_i32_i24_e32 v124, 0x50, v146
	v_add_f64 v[88:89], v[134:135], v[144:145]
	v_add_f64 v[84:85], v[138:139], v[148:149]
	;; [unrolled: 1-line block ×9, first 2 shown]
	v_add_f64 v[108:109], v[134:135], -v[144:145]
	v_add_f64 v[104:105], v[138:139], -v[148:149]
	v_add_f64 v[116:117], v[0:1], -v[150:151]
	v_add_f64 v[0:1], v[132:133], -v[152:153]
	v_add_f64 v[114:115], v[136:137], -v[142:143]
	v_add_f64 v[110:111], v[118:119], -v[110:111]
	v_add_f64 v[106:107], v[140:141], -v[154:155]
	v_add_f64 v[118:119], v[2:3], -v[156:157]
	v_add_f64 v[2:3], v[128:129], -v[130:131]
	v_lshlrev_b32_e32 v169, 4, v4
	v_lshl_add_u64 v[124:125], s[6:7], 0, v[124:125]
	ds_write_b128 v169, v[92:95]
	ds_write_b128 v169, v[88:91] offset:160
	ds_write_b128 v169, v[84:87] offset:320
	;; [unrolled: 1-line block ×9, first 2 shown]
	s_waitcnt lgkmcnt(0)
	s_barrier
	ds_read_b128 v[16:19], v244
	ds_read_b128 v[116:119], v244 offset:9600
	ds_read_b128 v[112:115], v244 offset:19200
	;; [unrolled: 1-line block ×29, first 2 shown]
	global_load_dwordx4 v[130:133], v[124:125], off offset:1488
	global_load_dwordx4 v[134:137], v[124:125], off offset:1472
	global_load_dwordx4 v[138:141], v[124:125], off offset:1456
	global_load_dwordx4 v[142:145], v[124:125], off offset:1440
	v_cmp_lt_u16_e32 vcc, s39, v172
	s_movk_i32 s39, 0x258
	s_waitcnt vmcnt(3) lgkmcnt(14)
	v_mul_f64 v[166:167], v[104:105], v[132:133]
	s_waitcnt vmcnt(2)
	v_mul_f64 v[154:155], v[108:109], v[136:137]
	s_waitcnt vmcnt(1)
	;; [unrolled: 2-line block ×3, first 2 shown]
	v_mul_f64 v[128:129], v[118:119], v[144:145]
	v_fma_f64 v[148:149], v[116:117], v[142:143], -v[128:129]
	v_mul_f64 v[150:151], v[116:117], v[144:145]
	v_mul_f64 v[116:117], v[114:115], v[140:141]
	v_fma_f64 v[156:157], v[112:113], v[138:139], -v[116:117]
	v_mul_f64 v[112:113], v[110:111], v[136:137]
	v_fma_f64 v[152:153], v[108:109], v[134:135], -v[112:113]
	;; [unrolled: 2-line block ×3, first 2 shown]
	v_fmac_f64_e32 v[166:167], v[106:107], v[130:131]
	global_load_dwordx4 v[106:109], v[124:125], off offset:1504
	v_fmac_f64_e32 v[150:151], v[118:119], v[142:143]
	v_fmac_f64_e32 v[158:159], v[114:115], v[138:139]
	;; [unrolled: 1-line block ×3, first 2 shown]
	v_accvgpr_write_b32 a36, v130
	v_accvgpr_write_b32 a80, v138
	;; [unrolled: 1-line block ×16, first 2 shown]
	s_waitcnt vmcnt(0)
	v_mul_f64 v[104:105], v[102:103], v[108:109]
	v_fma_f64 v[160:161], v[100:101], v[106:107], -v[104:105]
	v_mul_f64 v[162:163], v[100:101], v[108:109]
	v_mov_b32_e32 v100, 41
	v_mul_lo_u16_sdwa v100, v120, v100 dst_sel:DWORD dst_unused:UNUSED_PAD src0_sel:BYTE_0 src1_sel:DWORD
	v_lshrrev_b16_e32 v170, 12, v100
	v_mul_lo_u16_e32 v100, 0x64, v170
	v_sub_u16_e32 v100, v120, v100
	v_and_b32_e32 v177, 0xff, v100
	v_accvgpr_write_b32 a60, v106
	v_mad_u64_u32 v[100:101], s[22:23], v177, s38, v[126:127]
	v_fmac_f64_e32 v[162:163], v[102:103], v[106:107]
	v_accvgpr_write_b32 a61, v107
	v_accvgpr_write_b32 a62, v108
	;; [unrolled: 1-line block ×3, first 2 shown]
	global_load_dwordx4 v[104:107], v[100:101], off offset:1488
	global_load_dwordx4 v[108:111], v[100:101], off offset:1472
	global_load_dwordx4 v[112:115], v[100:101], off offset:1456
	global_load_dwordx4 v[116:119], v[100:101], off offset:1440
	s_mov_b32 s23, 0xbfebb67a
	s_waitcnt vmcnt(3)
	v_mul_f64 v[144:145], v[84:85], v[106:107]
	s_waitcnt vmcnt(2)
	v_mul_f64 v[132:133], v[88:89], v[110:111]
	;; [unrolled: 2-line block ×4, first 2 shown]
	v_fma_f64 v[128:129], v[96:97], v[116:117], -v[102:103]
	v_mul_f64 v[130:131], v[96:97], v[118:119]
	v_mul_f64 v[96:97], v[94:95], v[114:115]
	v_fma_f64 v[138:139], v[92:93], v[112:113], -v[96:97]
	v_mul_f64 v[92:93], v[90:91], v[110:111]
	v_fma_f64 v[124:125], v[88:89], v[108:109], -v[92:93]
	;; [unrolled: 2-line block ×3, first 2 shown]
	v_fmac_f64_e32 v[144:145], v[86:87], v[104:105]
	global_load_dwordx4 v[86:89], v[100:101], off offset:1504
	v_fmac_f64_e32 v[130:131], v[98:99], v[116:117]
	v_fmac_f64_e32 v[140:141], v[94:95], v[112:113]
	;; [unrolled: 1-line block ×3, first 2 shown]
	v_accvgpr_write_b32 a24, v112
	v_accvgpr_write_b32 a52, v108
	;; [unrolled: 1-line block ×16, first 2 shown]
	s_waitcnt vmcnt(0)
	v_mul_f64 v[84:85], v[82:83], v[88:89]
	v_fma_f64 v[134:135], v[80:81], v[86:87], -v[84:85]
	v_mul_f64 v[136:137], v[80:81], v[88:89]
	v_lshrrev_b16_e32 v80, 2, v122
	v_mul_u32_u24_e32 v80, 0x147b, v80
	v_lshrrev_b32_e32 v147, 17, v80
	v_mul_lo_u16_e32 v80, 0x64, v147
	v_sub_u16_e32 v171, v122, v80
	v_mul_lo_u16_e32 v80, 0x50, v171
	v_mov_b32_e32 v81, v245
	v_accvgpr_write_b32 a95, v89
	v_lshl_add_u64 v[80:81], s[6:7], 0, v[80:81]
	v_fmac_f64_e32 v[136:137], v[82:83], v[86:87]
	v_accvgpr_write_b32 a94, v88
	v_accvgpr_write_b32 a93, v87
	;; [unrolled: 1-line block ×3, first 2 shown]
	global_load_dwordx4 v[84:87], v[80:81], off offset:1488
	global_load_dwordx4 v[88:91], v[80:81], off offset:1472
	;; [unrolled: 1-line block ×4, first 2 shown]
	s_waitcnt vmcnt(3)
	v_accvgpr_write_b32 a249, v87
	v_accvgpr_write_b32 a248, v86
	s_waitcnt vmcnt(1)
	v_mul_f64 v[122:123], v[72:73], v[94:95]
	s_waitcnt vmcnt(0)
	v_mul_f64 v[82:83], v[78:79], v[98:99]
	v_fma_f64 v[120:121], v[76:77], v[96:97], -v[82:83]
	global_load_dwordx4 v[80:83], v[80:81], off offset:1504
	v_mul_f64 v[76:77], v[76:77], v[98:99]
	v_fmac_f64_e32 v[76:77], v[78:79], v[96:97]
	v_mul_f64 v[78:79], v[74:75], v[94:95]
	v_fma_f64 v[78:79], v[72:73], v[92:93], -v[78:79]
	v_mul_f64 v[72:73], v[70:71], v[90:91]
	v_fma_f64 v[72:73], v[68:69], v[88:89], -v[72:73]
	v_mul_f64 v[68:69], v[68:69], v[90:91]
	v_fmac_f64_e32 v[68:69], v[70:71], v[88:89]
	s_waitcnt lgkmcnt(13)
	v_mul_f64 v[70:71], v[66:67], v[86:87]
	v_fmac_f64_e32 v[122:123], v[74:75], v[92:93]
	v_fma_f64 v[70:71], v[64:65], v[84:85], -v[70:71]
	v_mul_f64 v[74:75], v[64:65], v[86:87]
	v_accvgpr_write_b32 a20, v96
	v_accvgpr_write_b32 a48, v92
	v_accvgpr_write_b32 a21, v97
	v_accvgpr_write_b32 a22, v98
	v_accvgpr_write_b32 a23, v99
	v_accvgpr_write_b32 a49, v93
	v_accvgpr_write_b32 a50, v94
	v_accvgpr_write_b32 a51, v95
	v_fmac_f64_e32 v[74:75], v[66:67], v[84:85]
	v_accvgpr_write_b32 a247, v85
	v_accvgpr_write_b32 a246, v84
	;; [unrolled: 1-line block ×6, first 2 shown]
	s_waitcnt vmcnt(0) lgkmcnt(12)
	v_mul_f64 v[64:65], v[62:63], v[82:83]
	v_fma_f64 v[64:65], v[60:61], v[80:81], -v[64:65]
	v_mul_f64 v[60:61], v[60:61], v[82:83]
	v_fmac_f64_e32 v[60:61], v[62:63], v[80:81]
	v_add_u16_e32 v62, 0x168, v172
	v_lshrrev_b16_e32 v63, 2, v62
	v_mul_u32_u24_e32 v63, 0x147b, v63
	v_lshrrev_b32_e32 v176, 17, v63
	v_mul_lo_u16_e32 v63, 0x64, v176
	v_sub_u16_e32 v178, v62, v63
	v_mul_lo_u16_e32 v62, 0x50, v178
	v_mov_b32_e32 v63, v245
	v_accvgpr_write_b32 a245, v83
	v_lshl_add_u64 v[62:63], s[6:7], 0, v[62:63]
	v_accvgpr_write_b32 a244, v82
	v_accvgpr_write_b32 a243, v81
	;; [unrolled: 1-line block ×3, first 2 shown]
	global_load_dwordx4 v[84:87], v[62:63], off offset:1488
	global_load_dwordx4 v[80:83], v[62:63], off offset:1472
	global_load_dwordx4 v[94:97], v[62:63], off offset:1456
	global_load_dwordx4 v[98:101], v[62:63], off offset:1440
	s_waitcnt vmcnt(3)
	v_accvgpr_write_b32 a253, v87
	v_accvgpr_write_b32 a252, v86
	;; [unrolled: 1-line block ×3, first 2 shown]
	s_waitcnt vmcnt(0) lgkmcnt(10)
	v_mul_f64 v[66:67], v[58:59], v[100:101]
	v_mul_f64 v[92:93], v[56:57], v[100:101]
	v_accvgpr_write_b32 a32, v98
	v_fma_f64 v[90:91], v[56:57], v[98:99], -v[66:67]
	v_fmac_f64_e32 v[92:93], v[58:59], v[98:99]
	v_accvgpr_write_b32 a33, v99
	v_accvgpr_write_b32 a34, v100
	;; [unrolled: 1-line block ×3, first 2 shown]
	v_mov_b64_e32 v[98:99], v[96:97]
	v_mov_b64_e32 v[96:97], v[94:95]
	s_waitcnt lgkmcnt(9)
	v_mul_f64 v[56:57], v[54:55], v[98:99]
	v_mul_f64 v[94:95], v[52:53], v[98:99]
	v_fma_f64 v[88:89], v[52:53], v[96:97], -v[56:57]
	v_fmac_f64_e32 v[94:95], v[54:55], v[96:97]
	v_mov_b64_e32 v[54:55], v[80:81]
	v_mov_b64_e32 v[56:57], v[82:83]
	v_accvgpr_write_b32 a40, v96
	s_waitcnt lgkmcnt(8)
	v_mul_f64 v[52:53], v[50:51], v[56:57]
	v_accvgpr_write_b32 a41, v97
	v_accvgpr_write_b32 a42, v98
	;; [unrolled: 1-line block ×3, first 2 shown]
	v_fma_f64 v[80:81], v[48:49], v[54:55], -v[52:53]
	v_mul_f64 v[82:83], v[48:49], v[56:57]
	s_waitcnt lgkmcnt(7)
	v_mul_f64 v[48:49], v[46:47], v[86:87]
	v_mul_f64 v[98:99], v[44:45], v[86:87]
	v_fma_f64 v[96:97], v[44:45], v[84:85], -v[48:49]
	v_fmac_f64_e32 v[98:99], v[46:47], v[84:85]
	global_load_dwordx4 v[46:49], v[62:63], off offset:1504
	v_accvgpr_write_b32 a250, v84
	v_accvgpr_write_b32 a87, v57
	v_fmac_f64_e32 v[82:83], v[50:51], v[54:55]
	v_accvgpr_write_b32 a86, v56
	v_accvgpr_write_b32 a85, v55
	;; [unrolled: 1-line block ×3, first 2 shown]
	s_waitcnt vmcnt(0) lgkmcnt(6)
	v_mul_f64 v[44:45], v[42:43], v[48:49]
	v_fma_f64 v[84:85], v[40:41], v[46:47], -v[44:45]
	v_mul_f64 v[86:87], v[40:41], v[48:49]
	v_add_u16_e32 v40, 0x1e0, v172
	v_lshrrev_b16_e32 v41, 2, v40
	v_mul_u32_u24_e32 v41, 0x147b, v41
	v_lshrrev_b32_e32 v179, 17, v41
	v_mul_lo_u16_e32 v41, 0x64, v179
	v_sub_u16_e32 v180, v40, v41
	v_mul_lo_u16_e32 v40, 0x50, v180
	v_mov_b32_e32 v41, v245
	v_accvgpr_write_b32 a241, v49
	v_lshl_add_u64 v[40:41], s[6:7], 0, v[40:41]
	v_fmac_f64_e32 v[86:87], v[42:43], v[46:47]
	v_accvgpr_write_b32 a240, v48
	v_accvgpr_write_b32 a239, v47
	;; [unrolled: 1-line block ×3, first 2 shown]
	global_load_dwordx4 v[44:47], v[40:41], off offset:1488
	global_load_dwordx4 v[48:51], v[40:41], off offset:1472
	;; [unrolled: 1-line block ×4, first 2 shown]
	s_mov_b32 s6, 0xe8584caa
	s_mov_b32 s7, 0x3febb67a
	;; [unrolled: 1-line block ×3, first 2 shown]
	s_waitcnt vmcnt(3) lgkmcnt(1)
	v_mul_f64 v[118:119], v[24:25], v[46:47]
	s_waitcnt vmcnt(2)
	v_mul_f64 v[102:103], v[28:29], v[50:51]
	s_waitcnt vmcnt(1)
	;; [unrolled: 2-line block ×3, first 2 shown]
	v_mul_f64 v[42:43], v[38:39], v[58:59]
	v_fma_f64 v[110:111], v[36:37], v[56:57], -v[42:43]
	v_mul_f64 v[112:113], v[36:37], v[58:59]
	v_mul_f64 v[36:37], v[34:35], v[54:55]
	v_fma_f64 v[108:109], v[32:33], v[52:53], -v[36:37]
	v_mul_f64 v[32:33], v[30:31], v[50:51]
	v_fma_f64 v[100:101], v[28:29], v[48:49], -v[32:33]
	;; [unrolled: 2-line block ×3, first 2 shown]
	v_fmac_f64_e32 v[118:119], v[26:27], v[44:45]
	global_load_dwordx4 v[26:29], v[40:41], off offset:1504
	v_fmac_f64_e32 v[114:115], v[34:35], v[52:53]
	v_fmac_f64_e32 v[112:113], v[38:39], v[56:57]
	;; [unrolled: 1-line block ×3, first 2 shown]
	v_accvgpr_write_b32 a71, v51
	v_accvgpr_write_b32 a79, v47
	;; [unrolled: 1-line block ×16, first 2 shown]
	s_waitcnt lgkmcnt(0)
	s_barrier
	s_waitcnt vmcnt(0)
	v_mul_f64 v[24:25], v[22:23], v[28:29]
	v_fma_f64 v[104:105], v[20:21], v[26:27], -v[24:25]
	v_mul_f64 v[106:107], v[20:21], v[28:29]
	v_add_f64 v[20:21], v[16:17], v[156:157]
	v_add_f64 v[32:33], v[20:21], v[164:165]
	;; [unrolled: 1-line block ×3, first 2 shown]
	v_fmac_f64_e32 v[16:17], -0.5, v[20:21]
	v_add_f64 v[20:21], v[158:159], -v[166:167]
	v_fma_f64 v[34:35], s[6:7], v[20:21], v[16:17]
	v_fmac_f64_e32 v[16:17], s[22:23], v[20:21]
	v_add_f64 v[20:21], v[18:19], v[158:159]
	v_add_f64 v[38:39], v[20:21], v[166:167]
	;; [unrolled: 1-line block ×3, first 2 shown]
	v_fmac_f64_e32 v[18:19], -0.5, v[20:21]
	v_add_f64 v[20:21], v[156:157], -v[164:165]
	v_fma_f64 v[40:41], s[22:23], v[20:21], v[18:19]
	v_fmac_f64_e32 v[18:19], s[6:7], v[20:21]
	v_add_f64 v[20:21], v[148:149], v[152:153]
	v_add_f64 v[36:37], v[20:21], v[160:161]
	;; [unrolled: 1-line block ×3, first 2 shown]
	v_fmac_f64_e32 v[148:149], -0.5, v[20:21]
	v_add_f64 v[20:21], v[154:155], -v[162:163]
	v_fmac_f64_e32 v[106:107], v[22:23], v[26:27]
	v_fma_f64 v[22:23], s[6:7], v[20:21], v[148:149]
	v_fmac_f64_e32 v[148:149], s[22:23], v[20:21]
	v_add_f64 v[20:21], v[150:151], v[154:155]
	v_add_f64 v[42:43], v[20:21], v[162:163]
	;; [unrolled: 1-line block ×3, first 2 shown]
	v_fmac_f64_e32 v[150:151], -0.5, v[20:21]
	v_add_f64 v[20:21], v[152:153], -v[160:161]
	v_fma_f64 v[30:31], s[22:23], v[20:21], v[150:151]
	v_mul_f64 v[44:45], v[30:31], s[6:7]
	v_mul_f64 v[48:49], v[22:23], s[22:23]
	v_fmac_f64_e32 v[44:45], 0.5, v[22:23]
	v_fmac_f64_e32 v[48:49], 0.5, v[30:31]
	v_fmac_f64_e32 v[150:151], s[6:7], v[20:21]
	v_add_f64 v[24:25], v[32:33], v[36:37]
	v_add_f64 v[20:21], v[34:35], v[44:45]
	;; [unrolled: 1-line block ×3, first 2 shown]
	v_add_f64 v[36:37], v[32:33], -v[36:37]
	v_add_f64 v[32:33], v[34:35], -v[44:45]
	;; [unrolled: 1-line block ×3, first 2 shown]
	v_add_f64 v[40:41], v[12:13], v[138:139]
	v_add_f64 v[52:53], v[40:41], v[142:143]
	;; [unrolled: 1-line block ×3, first 2 shown]
	v_fmac_f64_e32 v[12:13], -0.5, v[40:41]
	v_add_f64 v[40:41], v[140:141], -v[144:145]
	v_fma_f64 v[54:55], s[6:7], v[40:41], v[12:13]
	v_fmac_f64_e32 v[12:13], s[22:23], v[40:41]
	v_add_f64 v[40:41], v[14:15], v[140:141]
	v_add_f64 v[58:59], v[40:41], v[144:145]
	;; [unrolled: 1-line block ×3, first 2 shown]
	v_fmac_f64_e32 v[14:15], -0.5, v[40:41]
	v_add_f64 v[40:41], v[138:139], -v[142:143]
	v_fma_f64 v[62:63], s[22:23], v[40:41], v[14:15]
	v_fmac_f64_e32 v[14:15], s[6:7], v[40:41]
	v_add_f64 v[40:41], v[128:129], v[124:125]
	v_add_f64 v[56:57], v[40:41], v[134:135]
	;; [unrolled: 1-line block ×3, first 2 shown]
	v_accvgpr_write_b32 a91, v29
	v_fmac_f64_e32 v[128:129], -0.5, v[40:41]
	v_add_f64 v[40:41], v[132:133], -v[136:137]
	v_accvgpr_write_b32 a90, v28
	v_accvgpr_write_b32 a89, v27
	;; [unrolled: 1-line block ×3, first 2 shown]
	v_add_f64 v[26:27], v[38:39], v[42:43]
	v_add_f64 v[38:39], v[38:39], -v[42:43]
	v_fma_f64 v[42:43], s[6:7], v[40:41], v[128:129]
	v_fmac_f64_e32 v[128:129], s[22:23], v[40:41]
	v_add_f64 v[40:41], v[130:131], v[132:133]
	v_mul_f64 v[50:51], v[150:151], -0.5
	v_add_f64 v[66:67], v[40:41], v[136:137]
	v_add_f64 v[40:41], v[132:133], v[136:137]
	v_fmac_f64_e32 v[50:51], s[22:23], v[148:149]
	v_fmac_f64_e32 v[130:131], -0.5, v[40:41]
	v_add_f64 v[40:41], v[124:125], -v[134:135]
	v_add_f64 v[30:31], v[18:19], v[50:51]
	v_add_f64 v[18:19], v[18:19], -v[50:51]
	v_fma_f64 v[50:51], s[22:23], v[40:41], v[130:131]
	v_mul_f64 v[124:125], v[50:51], s[6:7]
	v_mul_f64 v[134:135], v[42:43], s[22:23]
	v_fmac_f64_e32 v[124:125], 0.5, v[42:43]
	v_fmac_f64_e32 v[134:135], 0.5, v[50:51]
	v_fmac_f64_e32 v[130:131], s[6:7], v[40:41]
	v_add_f64 v[44:45], v[52:53], v[56:57]
	v_add_f64 v[40:41], v[54:55], v[124:125]
	;; [unrolled: 1-line block ×3, first 2 shown]
	v_add_f64 v[56:57], v[52:53], -v[56:57]
	v_add_f64 v[52:53], v[54:55], -v[124:125]
	;; [unrolled: 1-line block ×3, first 2 shown]
	v_add_f64 v[62:63], v[8:9], v[78:79]
	v_mul_f64 v[132:133], v[128:129], -0.5
	v_add_f64 v[124:125], v[62:63], v[70:71]
	v_add_f64 v[62:63], v[78:79], v[70:71]
	v_fmac_f64_e32 v[132:133], s[6:7], v[130:131]
	v_mul_f64 v[130:131], v[130:131], -0.5
	v_fmac_f64_e32 v[8:9], -0.5, v[62:63]
	v_add_f64 v[62:63], v[122:123], -v[74:75]
	v_fmac_f64_e32 v[130:131], s[22:23], v[128:129]
	v_fma_f64 v[128:129], s[6:7], v[62:63], v[8:9]
	v_fmac_f64_e32 v[8:9], s[22:23], v[62:63]
	v_add_f64 v[62:63], v[10:11], v[122:123]
	v_add_f64 v[50:51], v[14:15], v[130:131]
	v_add_f64 v[14:15], v[14:15], -v[130:131]
	v_add_f64 v[130:131], v[62:63], v[74:75]
	v_add_f64 v[62:63], v[122:123], v[74:75]
	v_fmac_f64_e32 v[10:11], -0.5, v[62:63]
	v_add_f64 v[62:63], v[78:79], -v[70:71]
	v_fma_f64 v[74:75], s[22:23], v[62:63], v[10:11]
	v_fmac_f64_e32 v[10:11], s[6:7], v[62:63]
	v_add_f64 v[62:63], v[120:121], v[72:73]
	v_add_f64 v[78:79], v[62:63], v[64:65]
	;; [unrolled: 1-line block ×3, first 2 shown]
	v_fmac_f64_e32 v[120:121], -0.5, v[62:63]
	v_add_f64 v[62:63], v[68:69], -v[60:61]
	v_fma_f64 v[70:71], s[6:7], v[62:63], v[120:121]
	v_fmac_f64_e32 v[120:121], s[22:23], v[62:63]
	v_add_f64 v[62:63], v[76:77], v[68:69]
	v_add_f64 v[122:123], v[62:63], v[60:61]
	;; [unrolled: 1-line block ×3, first 2 shown]
	v_mul_f64 v[46:47], v[148:149], -0.5
	v_fmac_f64_e32 v[76:77], -0.5, v[60:61]
	v_add_f64 v[60:61], v[72:73], -v[64:65]
	v_fmac_f64_e32 v[46:47], s[6:7], v[150:151]
	v_add_f64 v[48:49], v[12:13], v[132:133]
	v_add_f64 v[12:13], v[12:13], -v[132:133]
	v_fma_f64 v[62:63], s[22:23], v[60:61], v[76:77]
	v_fmac_f64_e32 v[76:77], s[6:7], v[60:61]
	v_mul_f64 v[132:133], v[120:121], -0.5
	v_add_f64 v[28:29], v[16:17], v[46:47]
	v_add_f64 v[16:17], v[16:17], -v[46:47]
	v_add_f64 v[46:47], v[58:59], v[66:67]
	v_add_f64 v[58:59], v[58:59], -v[66:67]
	v_add_f64 v[64:65], v[124:125], v[78:79]
	v_fmac_f64_e32 v[132:133], s[6:7], v[76:77]
	v_add_f64 v[66:67], v[130:131], v[122:123]
	v_mul_f64 v[136:137], v[76:77], -0.5
	v_add_f64 v[76:77], v[124:125], -v[78:79]
	v_add_f64 v[78:79], v[130:131], -v[122:123]
	v_add_f64 v[122:123], v[88:89], v[96:97]
	v_fmac_f64_e32 v[136:137], s[22:23], v[120:121]
	v_add_f64 v[120:121], v[4:5], v[88:89]
	v_fmac_f64_e32 v[4:5], -0.5, v[122:123]
	v_add_f64 v[122:123], v[94:95], -v[98:99]
	v_fma_f64 v[124:125], s[6:7], v[122:123], v[4:5]
	v_fmac_f64_e32 v[4:5], s[22:23], v[122:123]
	v_add_f64 v[122:123], v[6:7], v[94:95]
	v_add_f64 v[94:95], v[94:95], v[98:99]
	v_fmac_f64_e32 v[6:7], -0.5, v[94:95]
	v_add_f64 v[88:89], v[88:89], -v[96:97]
	v_fma_f64 v[94:95], s[22:23], v[88:89], v[6:7]
	v_fmac_f64_e32 v[6:7], s[6:7], v[88:89]
	v_add_f64 v[88:89], v[90:91], v[80:81]
	v_add_f64 v[120:121], v[120:121], v[96:97]
	;; [unrolled: 1-line block ×4, first 2 shown]
	v_fmac_f64_e32 v[90:91], -0.5, v[88:89]
	v_add_f64 v[88:89], v[82:83], -v[86:87]
	v_add_f64 v[122:123], v[122:123], v[98:99]
	v_fma_f64 v[98:99], s[6:7], v[88:89], v[90:91]
	v_fmac_f64_e32 v[90:91], s[22:23], v[88:89]
	v_add_f64 v[88:89], v[92:93], v[82:83]
	v_add_f64 v[82:83], v[82:83], v[86:87]
	v_mul_f64 v[72:73], v[62:63], s[6:7]
	v_fmac_f64_e32 v[92:93], -0.5, v[82:83]
	v_add_f64 v[80:81], v[80:81], -v[84:85]
	v_fmac_f64_e32 v[72:73], 0.5, v[70:71]
	v_mul_f64 v[134:135], v[70:71], s[22:23]
	v_fma_f64 v[82:83], s[22:23], v[80:81], v[92:93]
	v_add_f64 v[60:61], v[128:129], v[72:73]
	v_fmac_f64_e32 v[134:135], 0.5, v[62:63]
	v_add_f64 v[72:73], v[128:129], -v[72:73]
	v_add_f64 v[128:129], v[88:89], v[86:87]
	v_mul_f64 v[130:131], v[82:83], s[6:7]
	v_add_f64 v[62:63], v[74:75], v[134:135]
	v_add_f64 v[74:75], v[74:75], -v[134:135]
	v_fmac_f64_e32 v[130:131], 0.5, v[98:99]
	v_add_f64 v[86:87], v[122:123], v[128:129]
	v_mul_f64 v[134:135], v[98:99], s[22:23]
	v_add_f64 v[98:99], v[122:123], -v[128:129]
	v_add_f64 v[122:123], v[108:109], v[116:117]
	v_add_f64 v[68:69], v[8:9], v[132:133]
	v_add_f64 v[8:9], v[8:9], -v[132:133]
	v_fmac_f64_e32 v[92:93], s[6:7], v[80:81]
	v_add_f64 v[84:85], v[120:121], v[96:97]
	v_mul_f64 v[132:133], v[90:91], -0.5
	v_add_f64 v[96:97], v[120:121], -v[96:97]
	v_add_f64 v[120:121], v[0:1], v[108:109]
	v_fmac_f64_e32 v[0:1], -0.5, v[122:123]
	v_add_f64 v[122:123], v[114:115], -v[118:119]
	v_add_f64 v[70:71], v[10:11], v[136:137]
	v_add_f64 v[10:11], v[10:11], -v[136:137]
	v_add_f64 v[80:81], v[124:125], v[130:131]
	v_fmac_f64_e32 v[132:133], s[6:7], v[92:93]
	v_mul_f64 v[136:137], v[92:93], -0.5
	v_add_f64 v[92:93], v[124:125], -v[130:131]
	v_fma_f64 v[124:125], s[6:7], v[122:123], v[0:1]
	v_fmac_f64_e32 v[0:1], s[22:23], v[122:123]
	v_add_f64 v[122:123], v[2:3], v[114:115]
	v_add_f64 v[114:115], v[114:115], v[118:119]
	v_fmac_f64_e32 v[2:3], -0.5, v[114:115]
	v_add_f64 v[108:109], v[108:109], -v[116:117]
	v_fma_f64 v[114:115], s[22:23], v[108:109], v[2:3]
	v_fmac_f64_e32 v[2:3], s[6:7], v[108:109]
	v_add_f64 v[108:109], v[110:111], v[100:101]
	v_add_f64 v[120:121], v[120:121], v[116:117]
	;; [unrolled: 1-line block ×4, first 2 shown]
	v_add_f64 v[100:101], v[100:101], -v[104:105]
	v_add_f64 v[104:105], v[120:121], v[116:117]
	v_add_f64 v[116:117], v[120:121], -v[116:117]
	v_mov_b32_e32 v120, 0x258
	v_cndmask_b32_e32 v120, 0, v120, vcc
	v_add_lshl_u32 v175, v146, v120, 4
	ds_write_b128 v175, v[24:27]
	ds_write_b128 v175, v[20:23] offset:1600
	ds_write_b128 v175, v[28:31] offset:3200
	;; [unrolled: 1-line block ×5, first 2 shown]
	v_mul_u32_u24_e32 v16, 0x258, v170
	v_fmac_f64_e32 v[110:111], -0.5, v[108:109]
	v_add_f64 v[108:109], v[102:103], -v[106:107]
	v_add_lshl_u32 v253, v16, v177, 4
	v_add_f64 v[122:123], v[122:123], v[118:119]
	v_fma_f64 v[118:119], s[6:7], v[108:109], v[110:111]
	v_fmac_f64_e32 v[110:111], s[22:23], v[108:109]
	v_add_f64 v[108:109], v[112:113], v[102:103]
	v_add_f64 v[102:103], v[102:103], v[106:107]
	ds_write_b128 v253, v[44:47]
	ds_write_b128 v253, v[40:43] offset:1600
	ds_write_b128 v253, v[48:51] offset:3200
	;; [unrolled: 1-line block ×5, first 2 shown]
	v_mad_legacy_u16 v12, v147, s39, v171
	v_fmac_f64_e32 v[112:113], -0.5, v[102:103]
	v_lshlrev_b32_e32 v12, 4, v12
	v_fmac_f64_e32 v[136:137], s[22:23], v[90:91]
	v_fma_f64 v[102:103], s[22:23], v[100:101], v[112:113]
	v_fmac_f64_e32 v[112:113], s[6:7], v[100:101]
	ds_write_b128 v12, v[64:67]
	ds_write_b128 v12, v[60:63] offset:1600
	ds_write_b128 v12, v[68:71] offset:3200
	;; [unrolled: 1-line block ×5, first 2 shown]
	v_mad_legacy_u16 v8, v176, s39, v178
	v_add_f64 v[88:89], v[4:5], v[132:133]
	v_fmac_f64_e32 v[134:135], 0.5, v[82:83]
	v_add_f64 v[90:91], v[6:7], v[136:137]
	v_add_f64 v[4:5], v[4:5], -v[132:133]
	v_add_f64 v[6:7], v[6:7], -v[136:137]
	v_mul_f64 v[136:137], v[112:113], -0.5
	v_lshlrev_b32_e32 v8, 4, v8
	v_add_f64 v[82:83], v[94:95], v[134:135]
	v_add_f64 v[94:95], v[94:95], -v[134:135]
	v_add_f64 v[128:129], v[108:109], v[106:107]
	v_mul_f64 v[130:131], v[102:103], s[6:7]
	v_mul_f64 v[132:133], v[110:111], -0.5
	v_mul_f64 v[134:135], v[118:119], s[22:23]
	v_fmac_f64_e32 v[136:137], s[22:23], v[110:111]
	ds_write_b128 v8, v[84:87]
	ds_write_b128 v8, v[80:83] offset:1600
	ds_write_b128 v8, v[88:91] offset:3200
	;; [unrolled: 1-line block ×5, first 2 shown]
	v_mad_legacy_u16 v4, v179, s39, v180
	v_fmac_f64_e32 v[130:131], 0.5, v[118:119]
	v_fmac_f64_e32 v[132:133], s[6:7], v[112:113]
	v_add_f64 v[106:107], v[122:123], v[128:129]
	v_fmac_f64_e32 v[134:135], 0.5, v[102:103]
	v_add_f64 v[110:111], v[2:3], v[136:137]
	v_add_f64 v[2:3], v[2:3], -v[136:137]
	v_lshlrev_b32_e32 v4, 4, v4
	v_mad_u64_u32 v[146:147], s[38:39], v172, s38, v[126:127]
	v_add_f64 v[100:101], v[124:125], v[130:131]
	v_add_f64 v[108:109], v[0:1], v[132:133]
	;; [unrolled: 1-line block ×3, first 2 shown]
	v_add_f64 v[112:113], v[124:125], -v[130:131]
	v_add_f64 v[0:1], v[0:1], -v[132:133]
	v_add_f64 v[118:119], v[122:123], -v[128:129]
	v_add_f64 v[114:115], v[114:115], -v[134:135]
	ds_write_b128 v4, v[104:107]
	ds_write_b128 v4, v[100:103] offset:1600
	ds_write_b128 v4, v[108:111] offset:3200
	;; [unrolled: 1-line block ×5, first 2 shown]
	v_add_co_u32_e32 v2, vcc, s28, v146
	s_mov_b64 s[38:39], 0x24e0
	s_nop 0
	v_addc_co_u32_e32 v3, vcc, 0, v147, vcc
	v_accvgpr_write_b32 a96, v12
	v_accvgpr_write_b32 a97, v8
	;; [unrolled: 1-line block ×3, first 2 shown]
	s_waitcnt lgkmcnt(0)
	s_barrier
	ds_read_b128 v[16:19], v244
	ds_read_b128 v[116:119], v244 offset:9600
	ds_read_b128 v[112:115], v244 offset:19200
	;; [unrolled: 1-line block ×29, first 2 shown]
	v_lshl_add_u64 v[0:1], v[146:147], 0, s[38:39]
	global_load_dwordx4 v[134:137], v[2:3], off offset:1248
	global_load_dwordx4 v[126:129], v[0:1], off offset:48
	;; [unrolled: 1-line block ×5, first 2 shown]
	v_add_co_u32_e32 v2, vcc, s30, v146
	s_mov_b64 s[38:39], 0x4a60
	s_nop 0
	v_addc_co_u32_e32 v3, vcc, 0, v147, vcc
	s_waitcnt vmcnt(4) lgkmcnt(14)
	v_mul_f64 v[0:1], v[118:119], v[136:137]
	v_accvgpr_write_b32 a12, v134
	v_fma_f64 v[30:31], v[116:117], v[134:135], -v[0:1]
	v_mul_f64 v[32:33], v[116:117], v[136:137]
	v_accvgpr_write_b32 a13, v135
	v_accvgpr_write_b32 a14, v136
	;; [unrolled: 1-line block ×3, first 2 shown]
	s_waitcnt vmcnt(1)
	v_mul_f64 v[0:1], v[114:115], v[144:145]
	v_mul_f64 v[136:137], v[112:113], v[144:145]
	v_fma_f64 v[116:117], v[112:113], v[142:143], -v[0:1]
	v_fmac_f64_e32 v[136:137], v[114:115], v[142:143]
	v_mov_b64_e32 v[112:113], v[138:139]
	v_mov_b64_e32 v[114:115], v[140:141]
	v_mul_f64 v[0:1], v[110:111], v[114:115]
	v_mul_f64 v[34:35], v[108:109], v[114:115]
	v_fma_f64 v[124:125], v[108:109], v[112:113], -v[0:1]
	v_fmac_f64_e32 v[34:35], v[110:111], v[112:113]
	v_mov_b64_e32 v[108:109], v[126:127]
	v_mov_b64_e32 v[110:111], v[128:129]
	v_mul_f64 v[0:1], v[106:107], v[110:111]
	v_fma_f64 v[28:29], v[104:105], v[108:109], -v[0:1]
	s_waitcnt vmcnt(0)
	v_mul_f64 v[0:1], v[102:103], v[156:157]
	v_mul_f64 v[166:167], v[104:105], v[110:111]
	v_fma_f64 v[104:105], v[100:101], v[154:155], -v[0:1]
	v_lshl_add_u64 v[0:1], v[146:147], 0, s[38:39]
	global_load_dwordx4 v[150:153], v[2:3], off offset:2656
	global_load_dwordx4 v[220:223], v[0:1], off offset:48
	;; [unrolled: 1-line block ×5, first 2 shown]
	v_accvgpr_write_b32 a4, v138
	v_accvgpr_write_b32 a8, v142
	;; [unrolled: 1-line block ×8, first 2 shown]
	v_mul_f64 v[170:171], v[100:101], v[156:157]
	s_mov_b64 s[38:39], 0x6fe0
	v_accvgpr_write_b32 a0, v126
	v_accvgpr_write_b32 a1, v127
	;; [unrolled: 1-line block ×4, first 2 shown]
	v_fmac_f64_e32 v[32:33], v[118:119], v[134:135]
	v_fmac_f64_e32 v[166:167], v[106:107], v[108:109]
	;; [unrolled: 1-line block ×3, first 2 shown]
	s_waitcnt vmcnt(4)
	v_mul_f64 v[0:1], v[98:99], v[152:153]
	v_fma_f64 v[0:1], v[96:97], v[150:151], -v[0:1]
	v_mul_f64 v[248:249], v[96:97], v[152:153]
	s_waitcnt vmcnt(1)
	v_mul_f64 v[96:97], v[94:95], v[160:161]
	v_fma_f64 v[96:97], v[92:93], v[158:159], -v[96:97]
	v_mul_f64 v[140:141], v[92:93], v[160:161]
	v_mul_f64 v[92:93], v[90:91], v[194:195]
	v_fma_f64 v[100:101], v[88:89], v[192:193], -v[92:93]
	v_mul_f64 v[144:145], v[88:89], v[194:195]
	v_mul_f64 v[88:89], v[86:87], v[222:223]
	s_waitcnt vmcnt(0)
	v_mul_f64 v[2:3], v[82:83], v[178:179]
	v_fma_f64 v[88:89], v[84:85], v[220:221], -v[88:89]
	v_mul_f64 v[138:139], v[84:85], v[222:223]
	v_fma_f64 v[84:85], v[80:81], v[176:177], -v[2:3]
	v_mul_f64 v[142:143], v[80:81], v[178:179]
	v_add_co_u32_e32 v80, vcc, s29, v146
	v_lshl_add_u64 v[2:3], v[146:147], 0, s[38:39]
	s_nop 0
	v_addc_co_u32_e32 v81, vcc, 0, v147, vcc
	global_load_dwordx4 v[162:165], v[80:81], off offset:4064
	global_load_dwordx4 v[232:235], v[2:3], off offset:48
	;; [unrolled: 1-line block ×4, first 2 shown]
	s_mov_b64 s[38:39], 0x9560
	v_fmac_f64_e32 v[144:145], v[90:91], v[192:193]
	v_fmac_f64_e32 v[140:141], v[94:95], v[158:159]
	;; [unrolled: 1-line block ×5, first 2 shown]
	s_waitcnt vmcnt(3)
	v_mul_f64 v[2:3], v[78:79], v[164:165]
	v_fma_f64 v[2:3], v[76:77], v[162:163], -v[2:3]
	v_mul_f64 v[76:77], v[76:77], v[164:165]
	v_fmac_f64_e32 v[76:77], v[78:79], v[162:163]
	s_waitcnt vmcnt(0)
	v_mul_f64 v[78:79], v[74:75], v[186:187]
	v_fma_f64 v[78:79], v[72:73], v[184:185], -v[78:79]
	v_mul_f64 v[72:73], v[72:73], v[186:187]
	v_fmac_f64_e32 v[72:73], v[74:75], v[184:185]
	v_mul_f64 v[74:75], v[70:71], v[210:211]
	v_fma_f64 v[80:81], v[68:69], v[208:209], -v[74:75]
	v_mul_f64 v[68:69], v[68:69], v[210:211]
	v_fmac_f64_e32 v[68:69], v[70:71], v[208:209]
	s_waitcnt lgkmcnt(13)
	v_mul_f64 v[70:71], v[66:67], v[234:235]
	v_fma_f64 v[70:71], v[64:65], v[232:233], -v[70:71]
	v_mul_f64 v[74:75], v[64:65], v[234:235]
	v_add_co_u32_e32 v64, vcc, s33, v146
	v_fmac_f64_e32 v[74:75], v[66:67], v[232:233]
	s_nop 0
	v_addc_co_u32_e32 v65, vcc, 0, v147, vcc
	global_load_dwordx4 v[188:191], v[64:65], off offset:32
	v_add_co_u32_e32 v66, vcc, s35, v146
	s_waitcnt vmcnt(0) lgkmcnt(12)
	v_mul_f64 v[64:65], v[62:63], v[190:191]
	v_fma_f64 v[64:65], v[60:61], v[188:189], -v[64:65]
	v_mul_f64 v[60:61], v[60:61], v[190:191]
	v_addc_co_u32_e32 v67, vcc, 0, v147, vcc
	v_fmac_f64_e32 v[60:61], v[62:63], v[188:189]
	v_lshl_add_u64 v[62:63], v[146:147], 0, s[38:39]
	global_load_dwordx4 v[180:183], v[66:67], off offset:1376
	global_load_dwordx4 v[236:239], v[62:63], off offset:48
	;; [unrolled: 1-line block ×5, first 2 shown]
	s_mov_b64 s[38:39], 0xbae0
	s_waitcnt vmcnt(4) lgkmcnt(10)
	v_mul_f64 v[62:63], v[58:59], v[182:183]
	v_fma_f64 v[90:91], v[56:57], v[180:181], -v[62:63]
	v_mul_f64 v[92:93], v[56:57], v[182:183]
	s_waitcnt vmcnt(1) lgkmcnt(9)
	v_mul_f64 v[56:57], v[54:55], v[198:199]
	v_fma_f64 v[126:127], v[52:53], v[196:197], -v[56:57]
	v_mul_f64 v[94:95], v[52:53], v[198:199]
	s_waitcnt lgkmcnt(8)
	v_mul_f64 v[52:53], v[50:51], v[226:227]
	v_fma_f64 v[134:135], v[48:49], v[224:225], -v[52:53]
	v_mul_f64 v[82:83], v[48:49], v[226:227]
	s_waitcnt lgkmcnt(7)
	v_mul_f64 v[48:49], v[46:47], v[238:239]
	s_waitcnt vmcnt(0) lgkmcnt(6)
	v_mul_f64 v[86:87], v[40:41], v[214:215]
	v_fma_f64 v[108:109], v[44:45], v[236:237], -v[48:49]
	v_mul_f64 v[98:99], v[44:45], v[238:239]
	v_mul_f64 v[44:45], v[42:43], v[214:215]
	v_fmac_f64_e32 v[86:87], v[42:43], v[212:213]
	v_add_co_u32_e32 v42, vcc, s36, v146
	v_fma_f64 v[128:129], v[40:41], v[212:213], -v[44:45]
	s_nop 0
	v_addc_co_u32_e32 v43, vcc, 0, v147, vcc
	v_lshl_add_u64 v[40:41], v[146:147], 0, s[38:39]
	global_load_dwordx4 v[200:203], v[42:43], off offset:2784
	global_load_dwordx4 v[240:243], v[40:41], off offset:48
	;; [unrolled: 1-line block ×4, first 2 shown]
	v_fmac_f64_e32 v[98:99], v[46:47], v[236:237]
	v_fmac_f64_e32 v[82:83], v[50:51], v[224:225]
	;; [unrolled: 1-line block ×4, first 2 shown]
	s_waitcnt vmcnt(3) lgkmcnt(4)
	v_mul_f64 v[40:41], v[38:39], v[202:203]
	v_fma_f64 v[110:111], v[36:37], v[200:201], -v[40:41]
	v_mul_f64 v[112:113], v[36:37], v[202:203]
	s_waitcnt vmcnt(0) lgkmcnt(3)
	v_mul_f64 v[36:37], v[132:133], v[218:219]
	v_fma_f64 v[146:147], v[130:131], v[216:217], -v[36:37]
	s_waitcnt lgkmcnt(2)
	v_mul_f64 v[36:37], v[206:207], v[230:231]
	v_mul_f64 v[102:103], v[204:205], v[230:231]
	v_fma_f64 v[148:149], v[204:205], v[228:229], -v[36:37]
	v_fmac_f64_e32 v[102:103], v[206:207], v[228:229]
	global_load_dwordx4 v[204:207], v[42:43], off offset:2848
	s_waitcnt lgkmcnt(1)
	v_mul_f64 v[36:37], v[26:27], v[242:243]
	v_mul_f64 v[114:115], v[130:131], v[218:219]
	v_fma_f64 v[130:131], v[24:25], v[240:241], -v[36:37]
	v_mul_f64 v[118:119], v[24:25], v[242:243]
	v_fmac_f64_e32 v[114:115], v[132:133], v[216:217]
	v_fmac_f64_e32 v[112:113], v[38:39], v[200:201]
	v_fmac_f64_e32 v[118:119], v[26:27], v[240:241]
	s_waitcnt vmcnt(0) lgkmcnt(0)
	v_mul_f64 v[24:25], v[22:23], v[206:207]
	v_fma_f64 v[132:133], v[20:21], v[204:205], -v[24:25]
	v_mul_f64 v[106:107], v[20:21], v[206:207]
	v_add_f64 v[20:21], v[16:17], v[116:117]
	v_add_f64 v[36:37], v[20:21], v[28:29]
	;; [unrolled: 1-line block ×3, first 2 shown]
	v_fmac_f64_e32 v[16:17], -0.5, v[20:21]
	v_add_f64 v[20:21], v[136:137], -v[166:167]
	v_fma_f64 v[38:39], s[6:7], v[20:21], v[16:17]
	v_fmac_f64_e32 v[16:17], s[22:23], v[20:21]
	v_add_f64 v[20:21], v[18:19], v[136:137]
	v_add_f64 v[40:41], v[20:21], v[166:167]
	;; [unrolled: 1-line block ×3, first 2 shown]
	v_fmac_f64_e32 v[18:19], -0.5, v[20:21]
	v_add_f64 v[20:21], v[116:117], -v[28:29]
	v_fma_f64 v[42:43], s[22:23], v[20:21], v[18:19]
	v_fmac_f64_e32 v[18:19], s[6:7], v[20:21]
	v_add_f64 v[20:21], v[30:31], v[124:125]
	v_add_f64 v[44:45], v[20:21], v[104:105]
	;; [unrolled: 1-line block ×3, first 2 shown]
	v_fmac_f64_e32 v[30:31], -0.5, v[20:21]
	v_add_f64 v[20:21], v[34:35], -v[170:171]
	v_fmac_f64_e32 v[106:107], v[22:23], v[204:205]
	v_fma_f64 v[22:23], s[6:7], v[20:21], v[30:31]
	v_fmac_f64_e32 v[30:31], s[22:23], v[20:21]
	v_add_f64 v[20:21], v[32:33], v[34:35]
	v_add_f64 v[46:47], v[20:21], v[170:171]
	;; [unrolled: 1-line block ×3, first 2 shown]
	v_fmac_f64_e32 v[32:33], -0.5, v[20:21]
	v_add_f64 v[20:21], v[124:125], -v[104:105]
	v_fma_f64 v[34:35], s[22:23], v[20:21], v[32:33]
	v_mul_f64 v[48:49], v[34:35], s[6:7]
	v_fmac_f64_e32 v[32:33], s[6:7], v[20:21]
	v_fmac_f64_e32 v[48:49], 0.5, v[22:23]
	v_mul_f64 v[50:51], v[30:31], -0.5
	v_mul_f64 v[52:53], v[22:23], s[22:23]
	v_add_f64 v[20:21], v[38:39], v[48:49]
	v_fmac_f64_e32 v[50:51], s[6:7], v[32:33]
	v_add_f64 v[26:27], v[40:41], v[46:47]
	v_fmac_f64_e32 v[52:53], 0.5, v[34:35]
	v_mul_f64 v[54:55], v[32:33], -0.5
	v_add_f64 v[32:33], v[38:39], -v[48:49]
	v_add_f64 v[38:39], v[40:41], -v[46:47]
	v_add_f64 v[40:41], v[12:13], v[96:97]
	v_add_f64 v[22:23], v[42:43], v[52:53]
	v_add_f64 v[34:35], v[42:43], -v[52:53]
	v_add_f64 v[52:53], v[40:41], v[88:89]
	v_add_f64 v[40:41], v[96:97], v[88:89]
	v_fmac_f64_e32 v[54:55], s[22:23], v[30:31]
	v_fmac_f64_e32 v[12:13], -0.5, v[40:41]
	v_add_f64 v[40:41], v[140:141], -v[138:139]
	v_add_f64 v[30:31], v[18:19], v[54:55]
	v_add_f64 v[18:19], v[18:19], -v[54:55]
	v_fma_f64 v[54:55], s[6:7], v[40:41], v[12:13]
	v_fmac_f64_e32 v[12:13], s[22:23], v[40:41]
	v_add_f64 v[40:41], v[14:15], v[140:141]
	v_add_f64 v[58:59], v[40:41], v[138:139]
	v_add_f64 v[40:41], v[140:141], v[138:139]
	v_fmac_f64_e32 v[14:15], -0.5, v[40:41]
	v_add_f64 v[40:41], v[96:97], -v[88:89]
	v_fma_f64 v[62:63], s[22:23], v[40:41], v[14:15]
	v_fmac_f64_e32 v[14:15], s[6:7], v[40:41]
	v_add_f64 v[40:41], v[0:1], v[100:101]
	v_add_f64 v[56:57], v[40:41], v[84:85]
	v_add_f64 v[40:41], v[100:101], v[84:85]
	v_fmac_f64_e32 v[0:1], -0.5, v[40:41]
	v_add_f64 v[40:41], v[144:145], -v[142:143]
	v_fma_f64 v[42:43], s[6:7], v[40:41], v[0:1]
	v_fmac_f64_e32 v[0:1], s[22:23], v[40:41]
	v_add_f64 v[40:41], v[248:249], v[144:145]
	v_add_f64 v[66:67], v[40:41], v[142:143]
	v_add_f64 v[40:41], v[144:145], v[142:143]
	v_fmac_f64_e32 v[248:249], -0.5, v[40:41]
	v_add_f64 v[40:41], v[100:101], -v[84:85]
	v_add_f64 v[28:29], v[16:17], v[50:51]
	v_add_f64 v[16:17], v[16:17], -v[50:51]
	v_fma_f64 v[50:51], s[22:23], v[40:41], v[248:249]
	v_mul_f64 v[84:85], v[50:51], s[6:7]
	v_mul_f64 v[96:97], v[42:43], s[22:23]
	v_fmac_f64_e32 v[248:249], s[6:7], v[40:41]
	v_fmac_f64_e32 v[84:85], 0.5, v[42:43]
	v_fmac_f64_e32 v[96:97], 0.5, v[50:51]
	v_add_f64 v[24:25], v[36:37], v[44:45]
	v_add_f64 v[36:37], v[36:37], -v[44:45]
	v_add_f64 v[44:45], v[52:53], v[56:57]
	v_add_f64 v[40:41], v[54:55], v[84:85]
	;; [unrolled: 1-line block ×3, first 2 shown]
	v_mul_f64 v[100:101], v[248:249], -0.5
	v_add_f64 v[56:57], v[52:53], -v[56:57]
	v_add_f64 v[52:53], v[54:55], -v[84:85]
	v_add_f64 v[54:55], v[62:63], -v[96:97]
	v_add_f64 v[62:63], v[78:79], v[70:71]
	v_mul_f64 v[88:89], v[0:1], -0.5
	v_fmac_f64_e32 v[100:101], s[22:23], v[0:1]
	v_add_f64 v[0:1], v[8:9], v[78:79]
	v_fmac_f64_e32 v[8:9], -0.5, v[62:63]
	v_add_f64 v[62:63], v[72:73], -v[74:75]
	v_fmac_f64_e32 v[88:89], s[6:7], v[248:249]
	v_fma_f64 v[84:85], s[6:7], v[62:63], v[8:9]
	v_fmac_f64_e32 v[8:9], s[22:23], v[62:63]
	v_add_f64 v[62:63], v[10:11], v[72:73]
	v_add_f64 v[48:49], v[12:13], v[88:89]
	v_add_f64 v[12:13], v[12:13], -v[88:89]
	v_add_f64 v[88:89], v[62:63], v[74:75]
	v_add_f64 v[62:63], v[72:73], v[74:75]
	v_fmac_f64_e32 v[10:11], -0.5, v[62:63]
	v_add_f64 v[62:63], v[78:79], -v[70:71]
	v_fma_f64 v[74:75], s[22:23], v[62:63], v[10:11]
	v_fmac_f64_e32 v[10:11], s[6:7], v[62:63]
	v_add_f64 v[62:63], v[2:3], v[80:81]
	v_add_f64 v[72:73], v[62:63], v[64:65]
	;; [unrolled: 1-line block ×3, first 2 shown]
	v_fmac_f64_e32 v[2:3], -0.5, v[62:63]
	v_add_f64 v[62:63], v[68:69], -v[60:61]
	v_add_f64 v[0:1], v[0:1], v[70:71]
	v_fma_f64 v[70:71], s[6:7], v[62:63], v[2:3]
	v_fmac_f64_e32 v[2:3], s[22:23], v[62:63]
	v_add_f64 v[62:63], v[76:77], v[68:69]
	v_add_f64 v[78:79], v[62:63], v[60:61]
	;; [unrolled: 1-line block ×3, first 2 shown]
	v_fmac_f64_e32 v[76:77], -0.5, v[60:61]
	v_add_f64 v[60:61], v[80:81], -v[64:65]
	v_fma_f64 v[62:63], s[22:23], v[60:61], v[76:77]
	v_fmac_f64_e32 v[76:77], s[6:7], v[60:61]
	v_mul_f64 v[80:81], v[62:63], s[6:7]
	v_mul_f64 v[104:105], v[76:77], -0.5
	v_add_f64 v[50:51], v[14:15], v[100:101]
	v_add_f64 v[14:15], v[14:15], -v[100:101]
	v_fmac_f64_e32 v[80:81], 0.5, v[70:71]
	v_mul_f64 v[96:97], v[2:3], -0.5
	v_mul_f64 v[100:101], v[70:71], s[22:23]
	v_fmac_f64_e32 v[104:105], s[22:23], v[2:3]
	v_add_f64 v[2:3], v[126:127], v[108:109]
	v_add_f64 v[64:65], v[0:1], v[72:73]
	v_add_f64 v[60:61], v[84:85], v[80:81]
	v_fmac_f64_e32 v[96:97], s[6:7], v[76:77]
	v_fmac_f64_e32 v[100:101], 0.5, v[62:63]
	v_add_f64 v[76:77], v[0:1], -v[72:73]
	v_add_f64 v[72:73], v[84:85], -v[80:81]
	v_add_f64 v[0:1], v[4:5], v[126:127]
	v_fmac_f64_e32 v[4:5], -0.5, v[2:3]
	v_add_f64 v[2:3], v[94:95], -v[98:99]
	v_add_f64 v[80:81], v[94:95], v[98:99]
	v_add_f64 v[62:63], v[74:75], v[100:101]
	v_add_f64 v[74:75], v[74:75], -v[100:101]
	v_fma_f64 v[100:101], s[6:7], v[2:3], v[4:5]
	v_fmac_f64_e32 v[4:5], s[22:23], v[2:3]
	v_add_f64 v[2:3], v[6:7], v[94:95]
	v_fmac_f64_e32 v[6:7], -0.5, v[80:81]
	v_add_f64 v[80:81], v[126:127], -v[108:109]
	v_fma_f64 v[94:95], s[22:23], v[80:81], v[6:7]
	v_fmac_f64_e32 v[6:7], s[6:7], v[80:81]
	v_add_f64 v[80:81], v[90:91], v[134:135]
	v_add_f64 v[68:69], v[8:9], v[96:97]
	v_add_f64 v[8:9], v[8:9], -v[96:97]
	v_add_f64 v[96:97], v[80:81], v[128:129]
	v_add_f64 v[80:81], v[134:135], v[128:129]
	v_fmac_f64_e32 v[90:91], -0.5, v[80:81]
	v_add_f64 v[80:81], v[82:83], -v[86:87]
	v_add_f64 v[2:3], v[2:3], v[98:99]
	v_fma_f64 v[98:99], s[6:7], v[80:81], v[90:91]
	v_fmac_f64_e32 v[90:91], s[22:23], v[80:81]
	v_add_f64 v[80:81], v[92:93], v[82:83]
	v_add_f64 v[70:71], v[10:11], v[104:105]
	v_add_f64 v[10:11], v[10:11], -v[104:105]
	v_add_f64 v[104:105], v[80:81], v[86:87]
	v_add_f64 v[80:81], v[82:83], v[86:87]
	v_fmac_f64_e32 v[92:93], -0.5, v[80:81]
	v_add_f64 v[80:81], v[134:135], -v[128:129]
	v_fma_f64 v[82:83], s[22:23], v[80:81], v[92:93]
	v_add_f64 v[0:1], v[0:1], v[108:109]
	v_mul_f64 v[108:109], v[82:83], s[6:7]
	v_fmac_f64_e32 v[92:93], s[6:7], v[80:81]
	v_fmac_f64_e32 v[108:109], 0.5, v[98:99]
	v_mul_f64 v[116:117], v[90:91], -0.5
	v_add_f64 v[86:87], v[2:3], v[104:105]
	v_mul_f64 v[124:125], v[98:99], s[22:23]
	v_add_f64 v[98:99], v[2:3], -v[104:105]
	v_add_f64 v[2:3], v[146:147], v[130:131]
	v_add_f64 v[84:85], v[0:1], v[96:97]
	v_add_f64 v[80:81], v[100:101], v[108:109]
	v_fmac_f64_e32 v[116:117], s[6:7], v[92:93]
	v_fmac_f64_e32 v[124:125], 0.5, v[82:83]
	v_mul_f64 v[126:127], v[92:93], -0.5
	v_add_f64 v[96:97], v[0:1], -v[96:97]
	v_add_f64 v[92:93], v[100:101], -v[108:109]
	v_add_f64 v[0:1], v[120:121], v[146:147]
	v_fmac_f64_e32 v[120:121], -0.5, v[2:3]
	v_add_f64 v[2:3], v[114:115], -v[118:119]
	v_add_f64 v[100:101], v[114:115], v[118:119]
	v_add_f64 v[82:83], v[94:95], v[124:125]
	v_add_f64 v[94:95], v[94:95], -v[124:125]
	v_fma_f64 v[124:125], s[6:7], v[2:3], v[120:121]
	v_fmac_f64_e32 v[120:121], s[22:23], v[2:3]
	v_add_f64 v[2:3], v[122:123], v[114:115]
	v_fmac_f64_e32 v[122:123], -0.5, v[100:101]
	v_add_f64 v[100:101], v[146:147], -v[130:131]
	v_fma_f64 v[114:115], s[22:23], v[100:101], v[122:123]
	v_fmac_f64_e32 v[122:123], s[6:7], v[100:101]
	v_add_f64 v[100:101], v[110:111], v[148:149]
	v_add_f64 v[46:47], v[58:59], v[66:67]
	v_add_f64 v[58:59], v[58:59], -v[66:67]
	v_add_f64 v[66:67], v[88:89], v[78:79]
	v_add_f64 v[78:79], v[88:89], -v[78:79]
	;; [unrolled: 2-line block ×3, first 2 shown]
	v_add_f64 v[116:117], v[100:101], v[132:133]
	v_add_f64 v[100:101], v[148:149], v[132:133]
	v_fmac_f64_e32 v[110:111], -0.5, v[100:101]
	v_add_f64 v[100:101], v[102:103], -v[106:107]
	v_fmac_f64_e32 v[126:127], s[22:23], v[90:91]
	v_add_f64 v[2:3], v[2:3], v[118:119]
	v_fma_f64 v[118:119], s[6:7], v[100:101], v[110:111]
	v_fmac_f64_e32 v[110:111], s[22:23], v[100:101]
	v_add_f64 v[100:101], v[112:113], v[102:103]
	v_add_f64 v[90:91], v[6:7], v[126:127]
	v_add_f64 v[6:7], v[6:7], -v[126:127]
	v_add_f64 v[126:127], v[100:101], v[106:107]
	v_add_f64 v[100:101], v[102:103], v[106:107]
	v_fmac_f64_e32 v[112:113], -0.5, v[100:101]
	v_add_f64 v[100:101], v[148:149], -v[132:133]
	v_fma_f64 v[102:103], s[22:23], v[100:101], v[112:113]
	v_fmac_f64_e32 v[112:113], s[6:7], v[100:101]
	v_add_f64 v[0:1], v[0:1], v[130:131]
	v_mul_f64 v[130:131], v[110:111], -0.5
	v_mul_f64 v[134:135], v[112:113], -0.5
	v_mul_f64 v[128:129], v[102:103], s[6:7]
	v_fmac_f64_e32 v[130:131], s[6:7], v[112:113]
	v_mul_f64 v[132:133], v[118:119], s[22:23]
	v_fmac_f64_e32 v[134:135], s[22:23], v[110:111]
	v_add_f64 v[104:105], v[0:1], v[116:117]
	v_fmac_f64_e32 v[128:129], 0.5, v[118:119]
	v_add_f64 v[106:107], v[2:3], v[126:127]
	v_fmac_f64_e32 v[132:133], 0.5, v[102:103]
	v_add_f64 v[116:117], v[0:1], -v[116:117]
	v_add_f64 v[0:1], v[120:121], -v[130:131]
	;; [unrolled: 1-line block ×4, first 2 shown]
	v_add_f64 v[100:101], v[124:125], v[128:129]
	v_add_f64 v[108:109], v[120:121], v[130:131]
	;; [unrolled: 1-line block ×4, first 2 shown]
	v_add_f64 v[112:113], v[124:125], -v[128:129]
	v_add_f64 v[114:115], v[114:115], -v[132:133]
	ds_write_b128 v244, v[24:27]
	ds_write_b128 v244, v[20:23] offset:9600
	ds_write_b128 v244, v[28:31] offset:19200
	;; [unrolled: 1-line block ×29, first 2 shown]
	s_waitcnt lgkmcnt(0)
	s_barrier
	ds_read_b128 v[0:3], v244
	global_load_dwordx4 v[4:7], v244, s[20:21]
	v_lshl_add_u64 v[14:15], s[20:21], 0, v[244:245]
	v_add_co_u32_e32 v20, vcc, s27, v14
	s_waitcnt vmcnt(0) lgkmcnt(0)
	v_mul_f64 v[8:9], v[2:3], v[6:7]
	v_mul_f64 v[10:11], v[0:1], v[6:7]
	v_addc_co_u32_e32 v21, vcc, 0, v15, vcc
	v_fma_f64 v[8:9], v[0:1], v[4:5], -v[8:9]
	v_fmac_f64_e32 v[10:11], v[2:3], v[4:5]
	global_load_dwordx4 v[4:7], v[20:21], off offset:1664
	ds_read_b128 v[0:3], v244 offset:5760
	v_add_co_u32_e32 v12, vcc, s28, v14
	ds_write_b128 v244, v[8:11]
	s_nop 0
	v_addc_co_u32_e32 v13, vcc, 0, v15, vcc
	v_add_co_u32_e32 v22, vcc, s30, v14
	s_waitcnt vmcnt(0) lgkmcnt(1)
	v_mul_f64 v[8:9], v[2:3], v[6:7]
	v_mul_f64 v[10:11], v[0:1], v[6:7]
	v_fma_f64 v[8:9], v[0:1], v[4:5], -v[8:9]
	v_fmac_f64_e32 v[10:11], v[2:3], v[4:5]
	global_load_dwordx4 v[4:7], v[12:13], off offset:3328
	ds_read_b128 v[0:3], v244 offset:11520
	ds_write_b128 v244, v[8:11] offset:5760
	v_addc_co_u32_e32 v23, vcc, 0, v15, vcc
	s_waitcnt vmcnt(0) lgkmcnt(1)
	v_mul_f64 v[8:9], v[2:3], v[6:7]
	v_mul_f64 v[10:11], v[0:1], v[6:7]
	v_fma_f64 v[8:9], v[0:1], v[4:5], -v[8:9]
	v_fmac_f64_e32 v[10:11], v[2:3], v[4:5]
	global_load_dwordx4 v[4:7], v[22:23], off offset:896
	ds_read_b128 v[0:3], v244 offset:17280
	ds_write_b128 v244, v[8:11] offset:11520
	s_waitcnt vmcnt(0) lgkmcnt(1)
	v_mul_f64 v[8:9], v[2:3], v[6:7]
	v_mul_f64 v[10:11], v[0:1], v[6:7]
	v_fma_f64 v[8:9], v[0:1], v[4:5], -v[8:9]
	v_fmac_f64_e32 v[10:11], v[2:3], v[4:5]
	ds_write_b128 v244, v[8:11] offset:17280
	v_add_co_u32_e32 v10, vcc, s31, v14
	ds_read_b128 v[0:3], v244 offset:23040
	s_nop 0
	v_addc_co_u32_e32 v11, vcc, 0, v15, vcc
	global_load_dwordx4 v[4:7], v[10:11], off offset:2560
	s_waitcnt vmcnt(0) lgkmcnt(0)
	v_mul_f64 v[8:9], v[2:3], v[6:7]
	v_fma_f64 v[16:17], v[0:1], v[4:5], -v[8:9]
	v_add_co_u32_e32 v8, vcc, s33, v14
	v_mul_f64 v[18:19], v[0:1], v[6:7]
	s_nop 0
	v_addc_co_u32_e32 v9, vcc, 0, v15, vcc
	v_fmac_f64_e32 v[18:19], v[2:3], v[4:5]
	global_load_dwordx4 v[4:7], v[8:9], off offset:128
	ds_read_b128 v[0:3], v244 offset:28800
	ds_write_b128 v244, v[16:19] offset:23040
	s_waitcnt vmcnt(0) lgkmcnt(1)
	v_mul_f64 v[16:17], v[2:3], v[6:7]
	v_mul_f64 v[18:19], v[0:1], v[6:7]
	v_fma_f64 v[16:17], v[0:1], v[4:5], -v[16:17]
	v_fmac_f64_e32 v[18:19], v[2:3], v[4:5]
	ds_write_b128 v244, v[16:19] offset:28800
	v_add_co_u32_e32 v16, vcc, s34, v14
	ds_read_b128 v[0:3], v244 offset:34560
	s_nop 0
	v_addc_co_u32_e32 v17, vcc, 0, v15, vcc
	global_load_dwordx4 v[4:7], v[16:17], off offset:1792
	s_waitcnt vmcnt(0) lgkmcnt(0)
	v_mul_f64 v[18:19], v[2:3], v[6:7]
	v_mul_f64 v[26:27], v[0:1], v[6:7]
	v_add_co_u32_e32 v6, vcc, s35, v14
	v_fma_f64 v[24:25], v[0:1], v[4:5], -v[18:19]
	v_fmac_f64_e32 v[26:27], v[2:3], v[4:5]
	v_addc_co_u32_e32 v7, vcc, 0, v15, vcc
	ds_write_b128 v244, v[24:27] offset:34560
	global_load_dwordx4 v[24:27], v[6:7], off offset:3456
	ds_read_b128 v[0:3], v244 offset:40320
	v_add_co_u32_e32 v18, vcc, s36, v14
	s_waitcnt vmcnt(0) lgkmcnt(0)
	v_mul_f64 v[4:5], v[2:3], v[26:27]
	v_mul_f64 v[30:31], v[0:1], v[26:27]
	v_addc_co_u32_e32 v19, vcc, 0, v15, vcc
	v_fma_f64 v[28:29], v[0:1], v[24:25], -v[4:5]
	v_fmac_f64_e32 v[30:31], v[2:3], v[24:25]
	global_load_dwordx4 v[24:27], v[18:19], off offset:1024
	ds_read_b128 v[0:3], v244 offset:46080
	ds_write_b128 v244, v[28:31] offset:40320
	s_waitcnt vmcnt(0) lgkmcnt(1)
	v_mul_f64 v[4:5], v[2:3], v[26:27]
	v_fma_f64 v[28:29], v[0:1], v[24:25], -v[4:5]
	v_add_co_u32_e32 v4, vcc, s37, v14
	v_mul_f64 v[30:31], v[0:1], v[26:27]
	s_nop 0
	v_addc_co_u32_e32 v5, vcc, 0, v15, vcc
	v_fmac_f64_e32 v[30:31], v[2:3], v[24:25]
	global_load_dwordx4 v[24:27], v[4:5], off offset:2688
	ds_read_b128 v[0:3], v244 offset:51840
	ds_write_b128 v244, v[28:31] offset:46080
	s_waitcnt vmcnt(0) lgkmcnt(1)
	v_mul_f64 v[28:29], v[2:3], v[26:27]
	v_mul_f64 v[30:31], v[0:1], v[26:27]
	v_fma_f64 v[28:29], v[0:1], v[24:25], -v[28:29]
	v_fmac_f64_e32 v[30:31], v[2:3], v[24:25]
	ds_read_b128 v[0:3], v244 offset:1920
	global_load_dwordx4 v[24:27], v244, s[20:21] offset:1920
	ds_write_b128 v244, v[28:31] offset:51840
	s_waitcnt vmcnt(0) lgkmcnt(1)
	v_mul_f64 v[28:29], v[2:3], v[26:27]
	v_mul_f64 v[30:31], v[0:1], v[26:27]
	v_fma_f64 v[28:29], v[0:1], v[24:25], -v[28:29]
	v_fmac_f64_e32 v[30:31], v[2:3], v[24:25]
	global_load_dwordx4 v[24:27], v[20:21], off offset:3584
	ds_read_b128 v[0:3], v244 offset:7680
	ds_write_b128 v244, v[28:31] offset:1920
	s_waitcnt vmcnt(0) lgkmcnt(1)
	v_mul_f64 v[20:21], v[2:3], v[26:27]
	v_fma_f64 v[28:29], v[0:1], v[24:25], -v[20:21]
	v_add_co_u32_e32 v20, vcc, s26, v14
	v_mul_f64 v[30:31], v[0:1], v[26:27]
	s_nop 0
	v_addc_co_u32_e32 v21, vcc, 0, v15, vcc
	v_fmac_f64_e32 v[30:31], v[2:3], v[24:25]
	global_load_dwordx4 v[24:27], v[20:21], off offset:1152
	ds_read_b128 v[0:3], v244 offset:13440
	ds_write_b128 v244, v[28:31] offset:7680
	s_waitcnt vmcnt(0) lgkmcnt(1)
	v_mul_f64 v[28:29], v[2:3], v[26:27]
	v_mul_f64 v[30:31], v[0:1], v[26:27]
	v_fma_f64 v[28:29], v[0:1], v[24:25], -v[28:29]
	v_fmac_f64_e32 v[30:31], v[2:3], v[24:25]
	global_load_dwordx4 v[22:25], v[22:23], off offset:2816
	ds_read_b128 v[0:3], v244 offset:19200
	ds_write_b128 v244, v[28:31] offset:13440
	s_waitcnt vmcnt(0) lgkmcnt(1)
	v_mul_f64 v[28:29], v[0:1], v[24:25]
	v_mul_f64 v[26:27], v[2:3], v[24:25]
	v_fmac_f64_e32 v[28:29], v[2:3], v[22:23]
	v_add_co_u32_e32 v2, vcc, s29, v14
	v_fma_f64 v[26:27], v[0:1], v[22:23], -v[26:27]
	s_nop 0
	v_addc_co_u32_e32 v3, vcc, 0, v15, vcc
	ds_write_b128 v244, v[26:29] offset:19200
	global_load_dwordx4 v[26:29], v[2:3], off offset:384
	ds_read_b128 v[22:25], v244 offset:24960
	s_waitcnt vmcnt(0) lgkmcnt(0)
	v_mul_f64 v[0:1], v[24:25], v[28:29]
	v_mul_f64 v[32:33], v[22:23], v[28:29]
	v_fma_f64 v[30:31], v[22:23], v[26:27], -v[0:1]
	v_fmac_f64_e32 v[32:33], v[24:25], v[26:27]
	global_load_dwordx4 v[26:29], v246, s[20:21]
	ds_read_b128 v[22:25], v244 offset:30720
	ds_write_b128 v244, v[30:33] offset:24960
	s_waitcnt vmcnt(0) lgkmcnt(1)
	v_mul_f64 v[0:1], v[24:25], v[28:29]
	v_mul_f64 v[32:33], v[22:23], v[28:29]
	v_fma_f64 v[30:31], v[22:23], v[26:27], -v[0:1]
	v_fmac_f64_e32 v[32:33], v[24:25], v[26:27]
	global_load_dwordx4 v[26:29], v[16:17], off offset:3712
	ds_read_b128 v[22:25], v244 offset:36480
	v_add_co_u32_e32 v16, vcc, s24, v14
	ds_write_b128 v244, v[30:33] offset:30720
	s_nop 0
	v_addc_co_u32_e32 v17, vcc, 0, v15, vcc
	s_waitcnt vmcnt(0) lgkmcnt(1)
	v_mul_f64 v[0:1], v[24:25], v[28:29]
	v_mul_f64 v[32:33], v[22:23], v[28:29]
	v_fma_f64 v[30:31], v[22:23], v[26:27], -v[0:1]
	v_fmac_f64_e32 v[32:33], v[24:25], v[26:27]
	global_load_dwordx4 v[26:29], v[16:17], off offset:1280
	ds_read_b128 v[22:25], v244 offset:42240
	ds_write_b128 v244, v[30:33] offset:36480
	s_waitcnt vmcnt(0) lgkmcnt(1)
	v_mul_f64 v[0:1], v[24:25], v[28:29]
	v_mul_f64 v[32:33], v[22:23], v[28:29]
	v_fma_f64 v[30:31], v[22:23], v[26:27], -v[0:1]
	v_fmac_f64_e32 v[32:33], v[24:25], v[26:27]
	global_load_dwordx4 v[26:29], v[18:19], off offset:2944
	ds_read_b128 v[22:25], v244 offset:48000
	ds_write_b128 v244, v[30:33] offset:42240
	s_waitcnt vmcnt(0) lgkmcnt(1)
	v_mul_f64 v[0:1], v[24:25], v[28:29]
	v_fma_f64 v[30:31], v[22:23], v[26:27], -v[0:1]
	v_add_co_u32_e32 v0, vcc, s25, v14
	v_mul_f64 v[32:33], v[22:23], v[28:29]
	s_nop 0
	v_addc_co_u32_e32 v1, vcc, 0, v15, vcc
	v_fmac_f64_e32 v[32:33], v[24:25], v[26:27]
	global_load_dwordx4 v[26:29], v[0:1], off offset:512
	ds_read_b128 v[22:25], v244 offset:53760
	ds_write_b128 v244, v[30:33] offset:48000
	s_waitcnt vmcnt(0) lgkmcnt(1)
	v_mul_f64 v[14:15], v[24:25], v[28:29]
	v_mul_f64 v[32:33], v[22:23], v[28:29]
	v_fma_f64 v[30:31], v[22:23], v[26:27], -v[14:15]
	v_fmac_f64_e32 v[32:33], v[24:25], v[26:27]
	ds_read_b128 v[22:25], v244 offset:3840
	global_load_dwordx4 v[26:29], v244, s[20:21] offset:3840
	ds_write_b128 v244, v[30:33] offset:53760
	s_waitcnt vmcnt(0) lgkmcnt(1)
	v_mul_f64 v[14:15], v[24:25], v[28:29]
	v_fma_f64 v[30:31], v[22:23], v[26:27], -v[14:15]
	global_load_dwordx4 v[12:15], v[12:13], off offset:1408
	v_mul_f64 v[32:33], v[22:23], v[28:29]
	v_fmac_f64_e32 v[32:33], v[24:25], v[26:27]
	ds_read_b128 v[22:25], v244 offset:9600
	ds_write_b128 v244, v[30:33] offset:3840
	s_waitcnt vmcnt(0) lgkmcnt(1)
	v_mul_f64 v[18:19], v[24:25], v[14:15]
	v_fma_f64 v[26:27], v[22:23], v[12:13], -v[18:19]
	global_load_dwordx4 v[18:21], v[20:21], off offset:3072
	v_mul_f64 v[28:29], v[22:23], v[14:15]
	v_fmac_f64_e32 v[28:29], v[24:25], v[12:13]
	ds_read_b128 v[12:15], v244 offset:15360
	ds_write_b128 v244, v[26:29] offset:9600
	s_waitcnt vmcnt(0) lgkmcnt(1)
	v_mul_f64 v[22:23], v[14:15], v[20:21]
	v_mul_f64 v[24:25], v[12:13], v[20:21]
	v_fma_f64 v[22:23], v[12:13], v[18:19], -v[22:23]
	v_fmac_f64_e32 v[24:25], v[14:15], v[18:19]
	global_load_dwordx4 v[18:21], v[10:11], off offset:640
	ds_read_b128 v[12:15], v244 offset:21120
	ds_write_b128 v244, v[22:25] offset:15360
	s_waitcnt vmcnt(0) lgkmcnt(1)
	v_mul_f64 v[10:11], v[14:15], v[20:21]
	v_fma_f64 v[10:11], v[12:13], v[18:19], -v[10:11]
	v_mul_f64 v[12:13], v[12:13], v[20:21]
	v_fmac_f64_e32 v[12:13], v[14:15], v[18:19]
	global_load_dwordx4 v[18:21], v[2:3], off offset:2304
	ds_write_b128 v244, v[10:13] offset:21120
	ds_read_b128 v[10:13], v244 offset:26880
	s_waitcnt vmcnt(0) lgkmcnt(0)
	v_mul_f64 v[2:3], v[12:13], v[20:21]
	v_mul_f64 v[24:25], v[10:11], v[20:21]
	v_fma_f64 v[22:23], v[10:11], v[18:19], -v[2:3]
	v_fmac_f64_e32 v[24:25], v[12:13], v[18:19]
	global_load_dwordx4 v[18:21], v[8:9], off offset:3968
	ds_read_b128 v[10:13], v244 offset:32640
	ds_write_b128 v244, v[22:25] offset:26880
	s_waitcnt vmcnt(0) lgkmcnt(1)
	v_mul_f64 v[2:3], v[12:13], v[20:21]
	v_fma_f64 v[8:9], v[10:11], v[18:19], -v[2:3]
	v_mul_f64 v[10:11], v[10:11], v[20:21]
	v_fmac_f64_e32 v[10:11], v[12:13], v[18:19]
	global_load_dwordx4 v[12:15], v[6:7], off offset:1536
	ds_write_b128 v244, v[8:11] offset:32640
	ds_read_b128 v[8:11], v244 offset:38400
	s_waitcnt vmcnt(0) lgkmcnt(0)
	v_mul_f64 v[2:3], v[10:11], v[14:15]
	v_fma_f64 v[6:7], v[8:9], v[12:13], -v[2:3]
	v_mul_f64 v[8:9], v[8:9], v[14:15]
	v_fmac_f64_e32 v[8:9], v[10:11], v[12:13]
	global_load_dwordx4 v[10:13], v[16:17], off offset:3200
	ds_write_b128 v244, v[6:9] offset:38400
	ds_read_b128 v[6:9], v244 offset:44160
	s_waitcnt vmcnt(0) lgkmcnt(0)
	v_mul_f64 v[2:3], v[8:9], v[12:13]
	v_fma_f64 v[14:15], v[6:7], v[10:11], -v[2:3]
	global_load_dwordx4 v[2:5], v[4:5], off offset:768
	v_mul_f64 v[16:17], v[6:7], v[12:13]
	v_fmac_f64_e32 v[16:17], v[8:9], v[10:11]
	ds_read_b128 v[6:9], v244 offset:49920
	ds_write_b128 v244, v[14:17] offset:44160
	s_waitcnt vmcnt(0) lgkmcnt(1)
	v_mul_f64 v[10:11], v[8:9], v[4:5]
	v_mul_f64 v[12:13], v[6:7], v[4:5]
	v_fma_f64 v[10:11], v[6:7], v[2:3], -v[10:11]
	v_fmac_f64_e32 v[12:13], v[8:9], v[2:3]
	global_load_dwordx4 v[6:9], v[0:1], off offset:2432
	ds_read_b128 v[2:5], v244 offset:55680
	ds_write_b128 v244, v[10:13] offset:49920
	s_waitcnt vmcnt(0) lgkmcnt(1)
	v_mul_f64 v[0:1], v[4:5], v[8:9]
	v_fma_f64 v[0:1], v[2:3], v[6:7], -v[0:1]
	v_mul_f64 v[2:3], v[2:3], v[8:9]
	v_fmac_f64_e32 v[2:3], v[4:5], v[6:7]
	ds_write_b128 v244, v[0:3] offset:55680
	s_waitcnt lgkmcnt(0)
	s_barrier
	ds_read_b128 v[64:67], v244
	ds_read_b128 v[84:87], v244 offset:5760
	ds_read_b128 v[104:107], v244 offset:11520
	;; [unrolled: 1-line block ×29, first 2 shown]
	s_waitcnt lgkmcnt(14)
	v_add_f64 v[120:121], v[64:65], v[104:105]
	v_add_f64 v[120:121], v[120:121], v[108:109]
	;; [unrolled: 1-line block ×5, first 2 shown]
	v_fma_f64 v[124:125], -0.5, v[120:121], v[64:65]
	v_add_f64 v[120:121], v[106:107], -v[118:119]
	v_fma_f64 v[130:131], s[10:11], v[120:121], v[124:125]
	v_add_f64 v[122:123], v[110:111], -v[114:115]
	v_add_f64 v[128:129], v[104:105], -v[108:109]
	;; [unrolled: 1-line block ×3, first 2 shown]
	v_fmac_f64_e32 v[124:125], s[4:5], v[120:121]
	v_fmac_f64_e32 v[130:131], s[12:13], v[122:123]
	v_add_f64 v[128:129], v[128:129], v[132:133]
	v_fmac_f64_e32 v[124:125], s[2:3], v[122:123]
	v_fmac_f64_e32 v[130:131], s[8:9], v[128:129]
	;; [unrolled: 1-line block ×3, first 2 shown]
	v_add_f64 v[128:129], v[104:105], v[116:117]
	v_fmac_f64_e32 v[64:65], -0.5, v[128:129]
	v_fma_f64 v[132:133], s[4:5], v[122:123], v[64:65]
	v_fmac_f64_e32 v[64:65], s[10:11], v[122:123]
	v_fmac_f64_e32 v[132:133], s[12:13], v[120:121]
	;; [unrolled: 1-line block ×3, first 2 shown]
	v_add_f64 v[120:121], v[66:67], v[106:107]
	v_add_f64 v[128:129], v[108:109], -v[104:105]
	v_add_f64 v[134:135], v[112:113], -v[116:117]
	v_add_f64 v[120:121], v[120:121], v[110:111]
	v_add_f64 v[128:129], v[128:129], v[134:135]
	;; [unrolled: 1-line block ×3, first 2 shown]
	v_fmac_f64_e32 v[132:133], s[8:9], v[128:129]
	v_fmac_f64_e32 v[64:65], s[8:9], v[128:129]
	v_add_f64 v[128:129], v[120:121], v[118:119]
	v_add_f64 v[120:121], v[110:111], v[114:115]
	v_fma_f64 v[248:249], -0.5, v[120:121], v[66:67]
	v_add_f64 v[104:105], v[104:105], -v[116:117]
	v_fma_f64 v[140:141], s[4:5], v[104:105], v[248:249]
	v_add_f64 v[108:109], v[108:109], -v[112:113]
	v_add_f64 v[112:113], v[106:107], -v[110:111]
	v_add_f64 v[116:117], v[118:119], -v[114:115]
	v_fmac_f64_e32 v[248:249], s[10:11], v[104:105]
	v_fmac_f64_e32 v[140:141], s[2:3], v[108:109]
	v_add_f64 v[112:113], v[112:113], v[116:117]
	v_fmac_f64_e32 v[248:249], s[12:13], v[108:109]
	v_fmac_f64_e32 v[140:141], s[8:9], v[112:113]
	;; [unrolled: 1-line block ×3, first 2 shown]
	v_add_f64 v[112:113], v[106:107], v[118:119]
	v_fmac_f64_e32 v[66:67], -0.5, v[112:113]
	v_fma_f64 v[138:139], s[10:11], v[108:109], v[66:67]
	v_fmac_f64_e32 v[66:67], s[4:5], v[108:109]
	v_fmac_f64_e32 v[138:139], s[2:3], v[104:105]
	;; [unrolled: 1-line block ×3, first 2 shown]
	v_add_f64 v[104:105], v[84:85], v[88:89]
	v_add_f64 v[104:105], v[104:105], v[92:93]
	;; [unrolled: 1-line block ×3, first 2 shown]
	v_add_f64 v[106:107], v[110:111], -v[106:107]
	v_add_f64 v[110:111], v[114:115], -v[118:119]
	v_add_f64 v[142:143], v[104:105], v[100:101]
	v_add_f64 v[104:105], v[92:93], v[96:97]
	;; [unrolled: 1-line block ×3, first 2 shown]
	v_fma_f64 v[110:111], -0.5, v[104:105], v[84:85]
	v_add_f64 v[104:105], v[90:91], -v[102:103]
	v_fmac_f64_e32 v[138:139], s[8:9], v[106:107]
	v_fmac_f64_e32 v[66:67], s[8:9], v[106:107]
	v_fma_f64 v[106:107], s[10:11], v[104:105], v[110:111]
	v_add_f64 v[108:109], v[94:95], -v[98:99]
	v_add_f64 v[112:113], v[88:89], -v[92:93]
	;; [unrolled: 1-line block ×3, first 2 shown]
	v_fmac_f64_e32 v[110:111], s[4:5], v[104:105]
	v_fmac_f64_e32 v[106:107], s[12:13], v[108:109]
	v_add_f64 v[112:113], v[112:113], v[114:115]
	v_fmac_f64_e32 v[110:111], s[2:3], v[108:109]
	v_fmac_f64_e32 v[106:107], s[8:9], v[112:113]
	;; [unrolled: 1-line block ×3, first 2 shown]
	v_add_f64 v[112:113], v[88:89], v[100:101]
	v_fmac_f64_e32 v[84:85], -0.5, v[112:113]
	v_fma_f64 v[122:123], s[4:5], v[108:109], v[84:85]
	v_fmac_f64_e32 v[84:85], s[10:11], v[108:109]
	v_fmac_f64_e32 v[122:123], s[12:13], v[104:105]
	;; [unrolled: 1-line block ×3, first 2 shown]
	v_add_f64 v[104:105], v[86:87], v[90:91]
	v_add_f64 v[104:105], v[104:105], v[94:95]
	;; [unrolled: 1-line block ×5, first 2 shown]
	v_add_f64 v[112:113], v[92:93], -v[88:89]
	v_fma_f64 v[136:137], -0.5, v[104:105], v[86:87]
	v_add_f64 v[88:89], v[88:89], -v[100:101]
	v_add_f64 v[114:115], v[96:97], -v[100:101]
	v_fma_f64 v[100:101], s[4:5], v[88:89], v[136:137]
	v_add_f64 v[92:93], v[92:93], -v[96:97]
	v_add_f64 v[96:97], v[90:91], -v[94:95]
	;; [unrolled: 1-line block ×3, first 2 shown]
	v_fmac_f64_e32 v[136:137], s[10:11], v[88:89]
	v_fmac_f64_e32 v[100:101], s[2:3], v[92:93]
	v_add_f64 v[96:97], v[96:97], v[104:105]
	v_fmac_f64_e32 v[136:137], s[12:13], v[92:93]
	v_fmac_f64_e32 v[100:101], s[8:9], v[96:97]
	;; [unrolled: 1-line block ×3, first 2 shown]
	v_add_f64 v[96:97], v[90:91], v[102:103]
	v_fmac_f64_e32 v[86:87], -0.5, v[96:97]
	v_fma_f64 v[96:97], s[10:11], v[92:93], v[86:87]
	v_add_f64 v[90:91], v[94:95], -v[90:91]
	v_add_f64 v[94:95], v[98:99], -v[102:103]
	v_fmac_f64_e32 v[86:87], s[4:5], v[92:93]
	v_add_f64 v[90:91], v[90:91], v[94:95]
	v_fmac_f64_e32 v[86:87], s[12:13], v[88:89]
	v_add_f64 v[112:113], v[112:113], v[114:115]
	v_fmac_f64_e32 v[86:87], s[8:9], v[90:91]
	v_fmac_f64_e32 v[84:85], s[8:9], v[112:113]
	v_mul_f64 v[94:95], v[86:87], s[10:11]
	v_fmac_f64_e32 v[94:95], s[16:17], v[84:85]
	v_mul_f64 v[86:87], v[86:87], s[16:17]
	v_add_f64 v[104:105], v[64:65], v[94:95]
	v_fmac_f64_e32 v[86:87], s[4:5], v[84:85]
	v_add_f64 v[84:85], v[64:65], -v[94:95]
	v_add_f64 v[64:65], v[4:5], v[68:69]
	v_fmac_f64_e32 v[96:97], s[2:3], v[88:89]
	v_add_f64 v[64:65], v[64:65], v[72:73]
	v_fmac_f64_e32 v[96:97], s[8:9], v[90:91]
	v_mul_f64 v[88:89], v[100:101], s[12:13]
	v_mul_f64 v[98:99], v[136:137], s[12:13]
	s_waitcnt lgkmcnt(13)
	v_add_f64 v[64:65], v[64:65], v[76:77]
	v_fmac_f64_e32 v[122:123], s[8:9], v[112:113]
	v_fmac_f64_e32 v[88:89], s[18:19], v[106:107]
	v_mul_f64 v[90:91], v[96:97], s[10:11]
	v_fmac_f64_e32 v[98:99], s[14:15], v[110:111]
	v_add_f64 v[114:115], v[128:129], v[134:135]
	v_add_f64 v[94:95], v[128:129], -v[134:135]
	s_waitcnt lgkmcnt(11)
	v_add_f64 v[128:129], v[64:65], v[16:17]
	v_add_f64 v[64:65], v[72:73], v[76:77]
	;; [unrolled: 1-line block ×3, first 2 shown]
	v_fmac_f64_e32 v[90:91], s[8:9], v[122:123]
	v_add_f64 v[108:109], v[124:125], v[98:99]
	v_mul_f64 v[102:103], v[106:107], s[2:3]
	v_mul_f64 v[144:145], v[96:97], s[8:9]
	v_add_f64 v[96:97], v[130:131], -v[88:89]
	v_add_f64 v[88:89], v[124:125], -v[98:99]
	v_fma_f64 v[124:125], -0.5, v[64:65], v[4:5]
	v_add_f64 v[64:65], v[70:71], -v[18:19]
	v_add_f64 v[112:113], v[126:127], v[142:143]
	v_add_f64 v[120:121], v[132:133], v[90:91]
	v_fmac_f64_e32 v[102:103], s[18:19], v[100:101]
	v_add_f64 v[106:107], v[66:67], v[86:87]
	v_add_f64 v[92:93], v[126:127], -v[142:143]
	v_add_f64 v[100:101], v[132:133], -v[90:91]
	;; [unrolled: 1-line block ×3, first 2 shown]
	v_fma_f64 v[132:133], s[10:11], v[64:65], v[124:125]
	v_add_f64 v[66:67], v[74:75], -v[78:79]
	v_add_f64 v[126:127], v[68:69], -v[72:73]
	;; [unrolled: 1-line block ×3, first 2 shown]
	v_fmac_f64_e32 v[124:125], s[4:5], v[64:65]
	v_fmac_f64_e32 v[132:133], s[12:13], v[66:67]
	v_add_f64 v[126:127], v[126:127], v[130:131]
	v_fmac_f64_e32 v[124:125], s[2:3], v[66:67]
	v_mul_f64 v[136:137], v[136:137], s[14:15]
	v_fmac_f64_e32 v[132:133], s[8:9], v[126:127]
	v_fmac_f64_e32 v[124:125], s[8:9], v[126:127]
	v_add_f64 v[126:127], v[68:69], v[16:17]
	v_fmac_f64_e32 v[136:137], s[2:3], v[110:111]
	v_fmac_f64_e32 v[4:5], -0.5, v[126:127]
	v_add_f64 v[110:111], v[248:249], v[136:137]
	v_add_f64 v[90:91], v[248:249], -v[136:137]
	v_fma_f64 v[136:137], s[4:5], v[66:67], v[4:5]
	v_fmac_f64_e32 v[4:5], s[10:11], v[66:67]
	v_fmac_f64_e32 v[136:137], s[12:13], v[64:65]
	;; [unrolled: 1-line block ×3, first 2 shown]
	v_add_f64 v[64:65], v[6:7], v[70:71]
	v_add_f64 v[64:65], v[64:65], v[74:75]
	v_add_f64 v[126:127], v[72:73], -v[68:69]
	v_add_f64 v[130:131], v[76:77], -v[16:17]
	v_add_f64 v[64:65], v[64:65], v[78:79]
	v_add_f64 v[126:127], v[126:127], v[130:131]
	;; [unrolled: 1-line block ×4, first 2 shown]
	v_fmac_f64_e32 v[136:137], s[8:9], v[126:127]
	v_fmac_f64_e32 v[4:5], s[8:9], v[126:127]
	v_fma_f64 v[126:127], -0.5, v[64:65], v[6:7]
	v_add_f64 v[16:17], v[68:69], -v[16:17]
	v_fma_f64 v[134:135], s[4:5], v[16:17], v[126:127]
	v_add_f64 v[64:65], v[72:73], -v[76:77]
	v_add_f64 v[66:67], v[70:71], -v[74:75]
	;; [unrolled: 1-line block ×3, first 2 shown]
	v_fmac_f64_e32 v[126:127], s[10:11], v[16:17]
	v_fmac_f64_e32 v[134:135], s[2:3], v[64:65]
	v_add_f64 v[66:67], v[66:67], v[68:69]
	v_fmac_f64_e32 v[126:127], s[12:13], v[64:65]
	v_fmac_f64_e32 v[134:135], s[8:9], v[66:67]
	;; [unrolled: 1-line block ×3, first 2 shown]
	v_add_f64 v[66:67], v[70:71], v[18:19]
	v_fmac_f64_e32 v[144:145], s[4:5], v[122:123]
	v_fmac_f64_e32 v[6:7], -0.5, v[66:67]
	v_add_f64 v[118:119], v[140:141], v[102:103]
	v_add_f64 v[122:123], v[138:139], v[144:145]
	v_add_f64 v[98:99], v[140:141], -v[102:103]
	v_add_f64 v[102:103], v[138:139], -v[144:145]
	v_fma_f64 v[138:139], s[10:11], v[64:65], v[6:7]
	v_add_f64 v[66:67], v[74:75], -v[70:71]
	v_add_f64 v[18:19], v[78:79], -v[18:19]
	v_fmac_f64_e32 v[6:7], s[4:5], v[64:65]
	v_fmac_f64_e32 v[138:139], s[2:3], v[16:17]
	v_add_f64 v[18:19], v[66:67], v[18:19]
	v_fmac_f64_e32 v[6:7], s[12:13], v[16:17]
	v_fmac_f64_e32 v[138:139], s[8:9], v[18:19]
	v_fmac_f64_e32 v[6:7], s[8:9], v[18:19]
	v_add_f64 v[18:19], v[28:29], v[24:25]
	v_fma_f64 v[18:19], -0.5, v[18:19], v[0:1]
	s_waitcnt lgkmcnt(10)
	v_add_f64 v[64:65], v[34:35], -v[22:23]
	v_fma_f64 v[66:67], s[10:11], v[64:65], v[18:19]
	v_add_f64 v[68:69], v[30:31], -v[26:27]
	v_add_f64 v[70:71], v[32:33], -v[28:29]
	;; [unrolled: 1-line block ×3, first 2 shown]
	v_fmac_f64_e32 v[18:19], s[4:5], v[64:65]
	v_fmac_f64_e32 v[66:67], s[12:13], v[68:69]
	v_add_f64 v[70:71], v[70:71], v[72:73]
	v_fmac_f64_e32 v[18:19], s[2:3], v[68:69]
	v_fmac_f64_e32 v[66:67], s[8:9], v[70:71]
	;; [unrolled: 1-line block ×3, first 2 shown]
	v_add_f64 v[70:71], v[32:33], v[20:21]
	v_add_f64 v[16:17], v[0:1], v[32:33]
	v_fmac_f64_e32 v[0:1], -0.5, v[70:71]
	v_fma_f64 v[78:79], s[4:5], v[68:69], v[0:1]
	v_fmac_f64_e32 v[0:1], s[10:11], v[68:69]
	v_fmac_f64_e32 v[78:79], s[12:13], v[64:65]
	;; [unrolled: 1-line block ×3, first 2 shown]
	v_add_f64 v[64:65], v[2:3], v[34:35]
	v_add_f64 v[64:65], v[64:65], v[30:31]
	;; [unrolled: 1-line block ×8, first 2 shown]
	v_add_f64 v[72:73], v[24:25], -v[20:21]
	v_fma_f64 v[142:143], -0.5, v[64:65], v[2:3]
	v_add_f64 v[20:21], v[32:33], -v[20:21]
	v_add_f64 v[70:71], v[28:29], -v[32:33]
	v_fma_f64 v[32:33], s[4:5], v[20:21], v[142:143]
	v_add_f64 v[24:25], v[28:29], -v[24:25]
	v_add_f64 v[28:29], v[34:35], -v[30:31]
	;; [unrolled: 1-line block ×3, first 2 shown]
	v_fmac_f64_e32 v[142:143], s[10:11], v[20:21]
	v_fmac_f64_e32 v[32:33], s[2:3], v[24:25]
	v_add_f64 v[28:29], v[28:29], v[64:65]
	v_fmac_f64_e32 v[142:143], s[12:13], v[24:25]
	v_fmac_f64_e32 v[32:33], s[8:9], v[28:29]
	v_fmac_f64_e32 v[142:143], s[8:9], v[28:29]
	v_add_f64 v[28:29], v[34:35], v[22:23]
	v_fmac_f64_e32 v[2:3], -0.5, v[28:29]
	v_fma_f64 v[144:145], s[10:11], v[24:25], v[2:3]
	v_add_f64 v[28:29], v[30:31], -v[34:35]
	v_add_f64 v[22:23], v[26:27], -v[22:23]
	v_fmac_f64_e32 v[2:3], s[4:5], v[24:25]
	v_fmac_f64_e32 v[144:145], s[2:3], v[20:21]
	v_add_f64 v[22:23], v[28:29], v[22:23]
	v_fmac_f64_e32 v[2:3], s[12:13], v[20:21]
	v_add_f64 v[70:71], v[70:71], v[72:73]
	v_fmac_f64_e32 v[144:145], s[8:9], v[22:23]
	v_fmac_f64_e32 v[2:3], s[8:9], v[22:23]
	v_mul_f64 v[146:147], v[66:67], s[2:3]
	v_fmac_f64_e32 v[78:79], s[8:9], v[70:71]
	v_fmac_f64_e32 v[0:1], s[8:9], v[70:71]
	v_mul_f64 v[20:21], v[32:33], s[12:13]
	v_mul_f64 v[26:27], v[2:3], s[10:11]
	v_fmac_f64_e32 v[146:147], s[18:19], v[32:33]
	v_mul_f64 v[32:33], v[144:145], s[8:9]
	v_mul_f64 v[22:23], v[144:145], s[10:11]
	v_fmac_f64_e32 v[26:27], s[16:17], v[0:1]
	v_fmac_f64_e32 v[32:33], s[4:5], v[78:79]
	v_mul_f64 v[2:3], v[2:3], s[16:17]
	v_fmac_f64_e32 v[22:23], s[8:9], v[78:79]
	v_add_f64 v[28:29], v[4:5], v[26:27]
	v_add_f64 v[78:79], v[138:139], v[32:33]
	v_fmac_f64_e32 v[2:3], s[4:5], v[0:1]
	v_add_f64 v[0:1], v[4:5], -v[26:27]
	v_add_f64 v[26:27], v[138:139], -v[32:33]
	s_waitcnt lgkmcnt(7)
	v_add_f64 v[32:33], v[12:13], v[48:49]
	s_waitcnt lgkmcnt(5)
	v_add_f64 v[32:33], v[32:33], v[44:45]
	v_mul_f64 v[34:35], v[142:143], s[12:13]
	s_waitcnt lgkmcnt(3)
	v_add_f64 v[32:33], v[32:33], v[40:41]
	v_add_f64 v[68:69], v[128:129], v[16:17]
	v_fmac_f64_e32 v[34:35], s[14:15], v[18:19]
	v_mul_f64 v[142:143], v[142:143], s[14:15]
	v_add_f64 v[16:17], v[128:129], -v[16:17]
	s_waitcnt lgkmcnt(1)
	v_add_f64 v[128:129], v[32:33], v[36:37]
	v_add_f64 v[32:33], v[44:45], v[40:41]
	v_fmac_f64_e32 v[20:21], s[18:19], v[66:67]
	v_add_f64 v[64:65], v[124:125], v[34:35]
	v_fmac_f64_e32 v[142:143], s[2:3], v[18:19]
	v_add_f64 v[4:5], v[124:125], -v[34:35]
	v_fma_f64 v[124:125], -0.5, v[32:33], v[12:13]
	v_add_f64 v[32:33], v[50:51], -v[38:39]
	v_add_f64 v[72:73], v[132:133], v[20:21]
	v_add_f64 v[70:71], v[130:131], v[140:141]
	;; [unrolled: 1-line block ×4, first 2 shown]
	v_add_f64 v[20:21], v[132:133], -v[20:21]
	v_add_f64 v[18:19], v[130:131], -v[140:141]
	v_add_f64 v[2:3], v[6:7], -v[2:3]
	v_add_f64 v[6:7], v[126:127], -v[142:143]
	v_fma_f64 v[132:133], s[10:11], v[32:33], v[124:125]
	v_add_f64 v[34:35], v[46:47], -v[42:43]
	v_add_f64 v[126:127], v[48:49], -v[44:45]
	v_add_f64 v[130:131], v[36:37], -v[40:41]
	v_fmac_f64_e32 v[124:125], s[4:5], v[32:33]
	v_fmac_f64_e32 v[132:133], s[12:13], v[34:35]
	v_add_f64 v[126:127], v[126:127], v[130:131]
	v_fmac_f64_e32 v[124:125], s[2:3], v[34:35]
	v_fmac_f64_e32 v[132:133], s[8:9], v[126:127]
	v_fmac_f64_e32 v[124:125], s[8:9], v[126:127]
	v_add_f64 v[126:127], v[48:49], v[36:37]
	v_fmac_f64_e32 v[12:13], -0.5, v[126:127]
	v_add_f64 v[76:77], v[136:137], v[22:23]
	v_add_f64 v[24:25], v[136:137], -v[22:23]
	v_fma_f64 v[136:137], s[4:5], v[34:35], v[12:13]
	v_fmac_f64_e32 v[12:13], s[10:11], v[34:35]
	v_fmac_f64_e32 v[136:137], s[12:13], v[32:33]
	;; [unrolled: 1-line block ×3, first 2 shown]
	v_add_f64 v[32:33], v[14:15], v[50:51]
	v_add_f64 v[32:33], v[32:33], v[46:47]
	v_add_f64 v[126:127], v[44:45], -v[48:49]
	v_add_f64 v[130:131], v[40:41], -v[36:37]
	v_add_f64 v[32:33], v[32:33], v[42:43]
	v_add_f64 v[126:127], v[126:127], v[130:131]
	;; [unrolled: 1-line block ×4, first 2 shown]
	v_fmac_f64_e32 v[136:137], s[8:9], v[126:127]
	v_fmac_f64_e32 v[12:13], s[8:9], v[126:127]
	v_fma_f64 v[126:127], -0.5, v[32:33], v[14:15]
	v_add_f64 v[32:33], v[48:49], -v[36:37]
	v_add_f64 v[74:75], v[134:135], v[146:147]
	v_add_f64 v[22:23], v[134:135], -v[146:147]
	v_fma_f64 v[134:135], s[4:5], v[32:33], v[126:127]
	v_add_f64 v[34:35], v[44:45], -v[40:41]
	v_add_f64 v[36:37], v[50:51], -v[46:47]
	;; [unrolled: 1-line block ×3, first 2 shown]
	v_fmac_f64_e32 v[126:127], s[10:11], v[32:33]
	v_fmac_f64_e32 v[134:135], s[2:3], v[34:35]
	v_add_f64 v[36:37], v[36:37], v[40:41]
	v_fmac_f64_e32 v[126:127], s[12:13], v[34:35]
	v_fmac_f64_e32 v[134:135], s[8:9], v[36:37]
	;; [unrolled: 1-line block ×3, first 2 shown]
	v_add_f64 v[36:37], v[50:51], v[38:39]
	v_fmac_f64_e32 v[14:15], -0.5, v[36:37]
	v_fma_f64 v[138:139], s[10:11], v[34:35], v[14:15]
	v_fmac_f64_e32 v[14:15], s[4:5], v[34:35]
	v_fmac_f64_e32 v[138:139], s[2:3], v[32:33]
	;; [unrolled: 1-line block ×3, first 2 shown]
	v_add_f64 v[32:33], v[8:9], v[80:81]
	v_add_f64 v[32:33], v[32:33], v[60:61]
	;; [unrolled: 1-line block ×3, first 2 shown]
	v_add_f64 v[36:37], v[46:47], -v[50:51]
	v_add_f64 v[38:39], v[42:43], -v[38:39]
	s_waitcnt lgkmcnt(0)
	v_add_f64 v[140:141], v[32:33], v[52:53]
	v_add_f64 v[32:33], v[60:61], v[56:57]
	;; [unrolled: 1-line block ×3, first 2 shown]
	v_fma_f64 v[46:47], -0.5, v[32:33], v[8:9]
	v_add_f64 v[32:33], v[82:83], -v[54:55]
	v_fmac_f64_e32 v[138:139], s[8:9], v[36:37]
	v_fmac_f64_e32 v[14:15], s[8:9], v[36:37]
	v_fma_f64 v[34:35], s[10:11], v[32:33], v[46:47]
	v_add_f64 v[36:37], v[62:63], -v[58:59]
	v_add_f64 v[38:39], v[80:81], -v[60:61]
	;; [unrolled: 1-line block ×3, first 2 shown]
	v_fmac_f64_e32 v[46:47], s[4:5], v[32:33]
	v_fmac_f64_e32 v[34:35], s[12:13], v[36:37]
	v_add_f64 v[38:39], v[38:39], v[40:41]
	v_fmac_f64_e32 v[46:47], s[2:3], v[36:37]
	v_fmac_f64_e32 v[34:35], s[8:9], v[38:39]
	;; [unrolled: 1-line block ×3, first 2 shown]
	v_add_f64 v[38:39], v[80:81], v[52:53]
	v_fmac_f64_e32 v[8:9], -0.5, v[38:39]
	v_fma_f64 v[50:51], s[4:5], v[36:37], v[8:9]
	v_fmac_f64_e32 v[8:9], s[10:11], v[36:37]
	v_fmac_f64_e32 v[50:51], s[12:13], v[32:33]
	;; [unrolled: 1-line block ×3, first 2 shown]
	v_add_f64 v[32:33], v[10:11], v[82:83]
	v_add_f64 v[32:33], v[32:33], v[62:63]
	;; [unrolled: 1-line block ×3, first 2 shown]
	v_add_f64 v[38:39], v[60:61], -v[80:81]
	v_add_f64 v[40:41], v[56:57], -v[52:53]
	v_add_f64 v[142:143], v[32:33], v[54:55]
	v_add_f64 v[32:33], v[62:63], v[58:59]
	;; [unrolled: 1-line block ×3, first 2 shown]
	v_fma_f64 v[144:145], -0.5, v[32:33], v[10:11]
	v_add_f64 v[32:33], v[80:81], -v[52:53]
	v_fmac_f64_e32 v[50:51], s[8:9], v[38:39]
	v_fmac_f64_e32 v[8:9], s[8:9], v[38:39]
	v_fma_f64 v[38:39], s[4:5], v[32:33], v[144:145]
	v_add_f64 v[36:37], v[60:61], -v[56:57]
	v_add_f64 v[40:41], v[82:83], -v[62:63]
	;; [unrolled: 1-line block ×3, first 2 shown]
	v_fmac_f64_e32 v[144:145], s[10:11], v[32:33]
	v_fmac_f64_e32 v[38:39], s[2:3], v[36:37]
	v_add_f64 v[40:41], v[40:41], v[42:43]
	v_fmac_f64_e32 v[144:145], s[12:13], v[36:37]
	v_fmac_f64_e32 v[38:39], s[8:9], v[40:41]
	;; [unrolled: 1-line block ×3, first 2 shown]
	v_add_f64 v[40:41], v[82:83], v[54:55]
	v_fmac_f64_e32 v[10:11], -0.5, v[40:41]
	v_fma_f64 v[52:53], s[10:11], v[36:37], v[10:11]
	v_add_f64 v[40:41], v[62:63], -v[82:83]
	v_add_f64 v[42:43], v[58:59], -v[54:55]
	v_fmac_f64_e32 v[10:11], s[4:5], v[36:37]
	v_add_f64 v[40:41], v[40:41], v[42:43]
	v_fmac_f64_e32 v[10:11], s[12:13], v[32:33]
	v_fmac_f64_e32 v[52:53], s[2:3], v[32:33]
	;; [unrolled: 1-line block ×4, first 2 shown]
	v_mul_f64 v[60:61], v[10:11], s[10:11]
	v_mul_f64 v[62:63], v[144:145], s[12:13]
	;; [unrolled: 1-line block ×6, first 2 shown]
	v_fmac_f64_e32 v[60:61], s[16:17], v[8:9]
	v_fmac_f64_e32 v[62:63], s[14:15], v[46:47]
	v_mul_f64 v[80:81], v[34:35], s[2:3]
	v_mul_f64 v[82:83], v[52:53], s[8:9]
	v_fmac_f64_e32 v[146:147], s[4:5], v[8:9]
	v_fmac_f64_e32 v[144:145], s[2:3], v[46:47]
	;; [unrolled: 1-line block ×4, first 2 shown]
	v_add_f64 v[48:49], v[12:13], v[60:61]
	v_add_f64 v[44:45], v[124:125], v[62:63]
	v_fmac_f64_e32 v[80:81], s[18:19], v[38:39]
	v_fmac_f64_e32 v[82:83], s[4:5], v[50:51]
	v_add_f64 v[50:51], v[14:15], v[146:147]
	v_add_f64 v[46:47], v[126:127], v[144:145]
	v_add_f64 v[60:61], v[12:13], -v[60:61]
	v_add_f64 v[12:13], v[124:125], -v[62:63]
	;; [unrolled: 1-line block ×4, first 2 shown]
	v_accvgpr_read_b32 v124, a138
	v_add_f64 v[40:41], v[128:129], v[140:141]
	v_add_f64 v[36:37], v[132:133], v[54:55]
	;; [unrolled: 1-line block ×6, first 2 shown]
	v_add_f64 v[56:57], v[128:129], -v[140:141]
	v_add_f64 v[52:53], v[132:133], -v[54:55]
	;; [unrolled: 1-line block ×6, first 2 shown]
	v_accvgpr_read_b32 v126, a140
	v_accvgpr_read_b32 v127, a141
	s_barrier
	ds_write_b128 v173, v[112:115]
	ds_write_b128 v173, v[116:119] offset:16
	ds_write_b128 v173, v[120:123] offset:32
	ds_write_b128 v173, v[104:107] offset:48
	ds_write_b128 v173, v[108:111] offset:64
	ds_write_b128 v173, v[92:95] offset:80
	ds_write_b128 v173, v[96:99] offset:96
	ds_write_b128 v173, v[100:103] offset:112
	ds_write_b128 v173, v[84:87] offset:128
	ds_write_b128 v173, v[88:91] offset:144
	ds_write_b128 v174, v[68:71]
	ds_write_b128 v174, v[72:75] offset:16
	ds_write_b128 v174, v[76:79] offset:32
	ds_write_b128 v174, v[28:31] offset:48
	ds_write_b128 v174, v[64:67] offset:64
	ds_write_b128 v174, v[16:19] offset:80
	ds_write_b128 v174, v[20:23] offset:96
	ds_write_b128 v174, v[24:27] offset:112
	ds_write_b128 v174, v[0:3] offset:128
	ds_write_b128 v174, v[4:7] offset:144
	ds_write_b128 v250, v[40:43]
	ds_write_b128 v250, v[36:39] offset:16
	ds_write_b128 v250, v[32:35] offset:32
	ds_write_b128 v250, v[48:51] offset:48
	ds_write_b128 v250, v[44:47] offset:64
	ds_write_b128 v250, v[56:59] offset:80
	ds_write_b128 v250, v[52:55] offset:96
	ds_write_b128 v250, v[8:11] offset:112
	ds_write_b128 v250, v[60:63] offset:128
	ds_write_b128 v250, v[12:15] offset:144
	s_waitcnt lgkmcnt(0)
	s_barrier
	ds_read_b128 v[40:43], v244
	ds_read_b128 v[116:119], v244 offset:5760
	ds_read_b128 v[112:115], v244 offset:11520
	;; [unrolled: 1-line block ×29, first 2 shown]
	v_accvgpr_read_b32 v125, a139
	s_waitcnt lgkmcnt(14)
	v_mul_f64 v[122:123], v[126:127], v[118:119]
	v_fmac_f64_e32 v[122:123], v[124:125], v[116:117]
	v_mul_f64 v[116:117], v[126:127], v[116:117]
	v_fma_f64 v[124:125], v[124:125], v[118:119], -v[116:117]
	v_accvgpr_read_b32 v116, a134
	v_accvgpr_read_b32 v118, a136
	v_accvgpr_read_b32 v119, a137
	v_accvgpr_read_b32 v117, a135
	v_mul_f64 v[142:143], v[118:119], v[114:115]
	v_fmac_f64_e32 v[142:143], v[116:117], v[112:113]
	v_mul_f64 v[112:113], v[118:119], v[112:113]
	v_fma_f64 v[144:145], v[116:117], v[114:115], -v[112:113]
	v_accvgpr_read_b32 v112, a130
	v_accvgpr_read_b32 v114, a132
	v_accvgpr_read_b32 v115, a133
	v_accvgpr_read_b32 v113, a131
	;; [unrolled: 8-line block ×14, first 2 shown]
	s_waitcnt lgkmcnt(13)
	v_mul_f64 v[66:67], v[86:87], v[62:63]
	v_fmac_f64_e32 v[66:67], v[84:85], v[60:61]
	v_mul_f64 v[60:61], v[86:87], v[60:61]
	v_fma_f64 v[62:63], v[84:85], v[62:63], -v[60:61]
	v_accvgpr_read_b32 v84, a190
	v_accvgpr_read_b32 v86, a192
	v_accvgpr_read_b32 v87, a193
	v_accvgpr_read_b32 v85, a191
	s_waitcnt lgkmcnt(12)
	v_mul_f64 v[60:61], v[86:87], v[58:59]
	v_fmac_f64_e32 v[60:61], v[84:85], v[56:57]
	v_mul_f64 v[56:57], v[86:87], v[56:57]
	v_fma_f64 v[56:57], v[84:85], v[58:59], -v[56:57]
	v_accvgpr_read_b32 v84, a178
	v_accvgpr_read_b32 v86, a180
	v_accvgpr_read_b32 v87, a181
	v_accvgpr_read_b32 v85, a179
	;; [unrolled: 9-line block ×12, first 2 shown]
	s_waitcnt lgkmcnt(0)
	v_mul_f64 v[100:101], v[14:15], v[10:11]
	v_fmac_f64_e32 v[100:101], v[12:13], v[8:9]
	v_mul_f64 v[8:9], v[14:15], v[8:9]
	v_fma_f64 v[90:91], v[12:13], v[10:11], -v[8:9]
	v_add_f64 v[8:9], v[40:41], v[142:143]
	v_add_f64 v[8:9], v[8:9], v[170:171]
	v_add_f64 v[8:9], v[8:9], v[248:249]
	v_add_f64 v[28:29], v[8:9], v[254:255]
	v_add_f64 v[8:9], v[170:171], v[248:249]
	v_fma_f64 v[30:31], -0.5, v[8:9], v[40:41]
	v_add_f64 v[8:9], v[144:145], -v[166:167]
	v_fma_f64 v[32:33], s[10:11], v[8:9], v[30:31]
	v_add_f64 v[10:11], v[146:147], -v[148:149]
	v_add_f64 v[12:13], v[142:143], -v[170:171]
	v_add_f64 v[14:15], v[254:255], -v[248:249]
	v_fmac_f64_e32 v[30:31], s[4:5], v[8:9]
	v_fmac_f64_e32 v[32:33], s[12:13], v[10:11]
	v_add_f64 v[12:13], v[12:13], v[14:15]
	v_fmac_f64_e32 v[30:31], s[2:3], v[10:11]
	v_fmac_f64_e32 v[32:33], s[8:9], v[12:13]
	v_fmac_f64_e32 v[30:31], s[8:9], v[12:13]
	v_add_f64 v[12:13], v[142:143], v[254:255]
	v_fmac_f64_e32 v[40:41], -0.5, v[12:13]
	v_fma_f64 v[38:39], s[4:5], v[10:11], v[40:41]
	v_fmac_f64_e32 v[40:41], s[10:11], v[10:11]
	v_fmac_f64_e32 v[38:39], s[12:13], v[8:9]
	v_fmac_f64_e32 v[40:41], s[2:3], v[8:9]
	v_add_f64 v[8:9], v[42:43], v[144:145]
	v_add_f64 v[8:9], v[8:9], v[146:147]
	v_add_f64 v[8:9], v[8:9], v[148:149]
	v_add_f64 v[12:13], v[170:171], -v[142:143]
	v_add_f64 v[14:15], v[248:249], -v[254:255]
	v_add_f64 v[34:35], v[8:9], v[166:167]
	v_add_f64 v[8:9], v[146:147], v[148:149]
	v_add_f64 v[12:13], v[12:13], v[14:15]
	v_fma_f64 v[50:51], -0.5, v[8:9], v[42:43]
	v_add_f64 v[8:9], v[142:143], -v[254:255]
	v_fmac_f64_e32 v[38:39], s[8:9], v[12:13]
	v_fmac_f64_e32 v[40:41], s[8:9], v[12:13]
	v_fma_f64 v[46:47], s[4:5], v[8:9], v[50:51]
	v_add_f64 v[10:11], v[170:171], -v[248:249]
	v_add_f64 v[12:13], v[144:145], -v[146:147]
	v_add_f64 v[14:15], v[166:167], -v[148:149]
	v_fmac_f64_e32 v[50:51], s[10:11], v[8:9]
	v_fmac_f64_e32 v[46:47], s[2:3], v[10:11]
	v_add_f64 v[12:13], v[12:13], v[14:15]
	v_fmac_f64_e32 v[50:51], s[12:13], v[10:11]
	v_fmac_f64_e32 v[46:47], s[8:9], v[12:13]
	v_fmac_f64_e32 v[50:51], s[8:9], v[12:13]
	v_add_f64 v[12:13], v[144:145], v[166:167]
	v_fmac_f64_e32 v[42:43], -0.5, v[12:13]
	v_fma_f64 v[142:143], s[10:11], v[10:11], v[42:43]
	v_fmac_f64_e32 v[42:43], s[4:5], v[10:11]
	v_fmac_f64_e32 v[142:143], s[2:3], v[8:9]
	v_fmac_f64_e32 v[42:43], s[12:13], v[8:9]
	v_add_f64 v[8:9], v[122:123], v[132:133]
	v_add_f64 v[8:9], v[8:9], v[136:137]
	v_add_f64 v[8:9], v[8:9], v[138:139]
	v_add_f64 v[12:13], v[146:147], -v[144:145]
	v_add_f64 v[14:15], v[148:149], -v[166:167]
	v_add_f64 v[36:37], v[8:9], v[140:141]
	v_add_f64 v[8:9], v[136:137], v[138:139]
	v_add_f64 v[12:13], v[12:13], v[14:15]
	v_fma_f64 v[22:23], -0.5, v[8:9], v[122:123]
	v_add_f64 v[8:9], v[126:127], -v[134:135]
	v_fmac_f64_e32 v[142:143], s[8:9], v[12:13]
	v_fmac_f64_e32 v[42:43], s[8:9], v[12:13]
	;; [unrolled: 28-line block ×3, first 2 shown]
	v_fma_f64 v[14:15], s[4:5], v[8:9], v[44:45]
	v_add_f64 v[12:13], v[136:137], -v[138:139]
	v_add_f64 v[16:17], v[126:127], -v[128:129]
	;; [unrolled: 1-line block ×3, first 2 shown]
	v_fmac_f64_e32 v[44:45], s[10:11], v[8:9]
	v_fmac_f64_e32 v[14:15], s[2:3], v[12:13]
	v_add_f64 v[16:17], v[16:17], v[18:19]
	v_fmac_f64_e32 v[44:45], s[12:13], v[12:13]
	v_fmac_f64_e32 v[14:15], s[8:9], v[16:17]
	;; [unrolled: 1-line block ×3, first 2 shown]
	v_add_f64 v[16:17], v[126:127], v[134:135]
	v_fmac_f64_e32 v[124:125], -0.5, v[16:17]
	v_fma_f64 v[132:133], s[10:11], v[12:13], v[124:125]
	v_add_f64 v[16:17], v[128:129], -v[126:127]
	v_add_f64 v[18:19], v[130:131], -v[134:135]
	v_fmac_f64_e32 v[124:125], s[4:5], v[12:13]
	v_add_f64 v[16:17], v[16:17], v[18:19]
	v_fmac_f64_e32 v[124:125], s[12:13], v[8:9]
	v_fmac_f64_e32 v[132:133], s[2:3], v[8:9]
	;; [unrolled: 1-line block ×4, first 2 shown]
	v_mul_f64 v[130:131], v[124:125], s[10:11]
	v_mul_f64 v[124:125], v[124:125], s[16:17]
	;; [unrolled: 1-line block ×3, first 2 shown]
	v_fmac_f64_e32 v[130:131], s[16:17], v[122:123]
	v_mul_f64 v[136:137], v[14:15], s[18:19]
	v_fmac_f64_e32 v[124:125], s[4:5], v[122:123]
	v_mul_f64 v[122:123], v[44:45], s[14:15]
	;; [unrolled: 2-line block ×4, first 2 shown]
	v_fmac_f64_e32 v[122:123], s[2:3], v[22:23]
	v_add_f64 v[16:17], v[28:29], v[36:37]
	v_mul_f64 v[126:127], v[14:15], s[12:13]
	v_add_f64 v[8:9], v[38:39], v[128:129]
	v_fmac_f64_e32 v[134:135], s[14:15], v[22:23]
	v_add_f64 v[18:19], v[34:35], v[144:145]
	v_add_f64 v[14:15], v[46:47], v[136:137]
	v_fmac_f64_e32 v[132:133], s[4:5], v[26:27]
	v_add_f64 v[26:27], v[42:43], v[124:125]
	v_add_f64 v[22:23], v[50:51], v[122:123]
	v_add_f64 v[36:37], v[28:29], -v[36:37]
	v_add_f64 v[28:29], v[38:39], -v[128:129]
	;; [unrolled: 1-line block ×6, first 2 shown]
	v_add_f64 v[50:51], v[4:5], v[82:83]
	v_add_f64 v[50:51], v[50:51], v[74:75]
	;; [unrolled: 1-line block ×5, first 2 shown]
	v_fmac_f64_e32 v[126:127], s[18:19], v[10:11]
	v_fma_f64 v[122:123], -0.5, v[50:51], v[4:5]
	v_add_f64 v[50:51], v[78:79], -v[54:55]
	v_add_f64 v[12:13], v[32:33], v[126:127]
	v_add_f64 v[24:25], v[40:41], v[130:131]
	;; [unrolled: 1-line block ×4, first 2 shown]
	v_add_f64 v[32:33], v[32:33], -v[126:127]
	v_add_f64 v[44:45], v[40:41], -v[130:131]
	;; [unrolled: 1-line block ×4, first 2 shown]
	v_fma_f64 v[126:127], s[10:11], v[50:51], v[122:123]
	v_add_f64 v[128:129], v[70:71], -v[62:63]
	v_add_f64 v[130:131], v[82:83], -v[74:75]
	;; [unrolled: 1-line block ×3, first 2 shown]
	v_fmac_f64_e32 v[122:123], s[4:5], v[50:51]
	v_fmac_f64_e32 v[126:127], s[12:13], v[128:129]
	v_add_f64 v[130:131], v[130:131], v[132:133]
	v_fmac_f64_e32 v[122:123], s[2:3], v[128:129]
	v_fmac_f64_e32 v[126:127], s[8:9], v[130:131]
	;; [unrolled: 1-line block ×3, first 2 shown]
	v_add_f64 v[130:131], v[82:83], v[58:59]
	v_fmac_f64_e32 v[4:5], -0.5, v[130:131]
	v_fma_f64 v[132:133], s[4:5], v[128:129], v[4:5]
	v_fmac_f64_e32 v[4:5], s[10:11], v[128:129]
	v_fmac_f64_e32 v[132:133], s[12:13], v[50:51]
	;; [unrolled: 1-line block ×3, first 2 shown]
	v_add_f64 v[50:51], v[6:7], v[78:79]
	v_add_f64 v[50:51], v[50:51], v[70:71]
	v_add_f64 v[130:131], v[74:75], -v[82:83]
	v_add_f64 v[134:135], v[66:67], -v[58:59]
	v_add_f64 v[50:51], v[50:51], v[62:63]
	v_add_f64 v[130:131], v[130:131], v[134:135]
	;; [unrolled: 1-line block ×4, first 2 shown]
	v_fmac_f64_e32 v[132:133], s[8:9], v[130:131]
	v_fmac_f64_e32 v[4:5], s[8:9], v[130:131]
	v_fma_f64 v[130:131], -0.5, v[50:51], v[6:7]
	v_add_f64 v[50:51], v[82:83], -v[58:59]
	v_fma_f64 v[82:83], s[4:5], v[50:51], v[130:131]
	v_add_f64 v[58:59], v[74:75], -v[66:67]
	v_add_f64 v[66:67], v[78:79], -v[70:71]
	;; [unrolled: 1-line block ×3, first 2 shown]
	v_fmac_f64_e32 v[130:131], s[10:11], v[50:51]
	v_fmac_f64_e32 v[82:83], s[2:3], v[58:59]
	v_add_f64 v[66:67], v[66:67], v[74:75]
	v_fmac_f64_e32 v[130:131], s[12:13], v[58:59]
	v_fmac_f64_e32 v[82:83], s[8:9], v[66:67]
	v_fmac_f64_e32 v[130:131], s[8:9], v[66:67]
	v_add_f64 v[66:67], v[78:79], v[54:55]
	v_fmac_f64_e32 v[6:7], -0.5, v[66:67]
	v_fma_f64 v[134:135], s[10:11], v[58:59], v[6:7]
	v_fmac_f64_e32 v[6:7], s[4:5], v[58:59]
	v_fmac_f64_e32 v[134:135], s[2:3], v[50:51]
	;; [unrolled: 1-line block ×3, first 2 shown]
	v_add_f64 v[50:51], v[120:121], v[76:77]
	v_add_f64 v[50:51], v[50:51], v[68:69]
	;; [unrolled: 1-line block ×3, first 2 shown]
	v_add_f64 v[66:67], v[70:71], -v[78:79]
	v_add_f64 v[54:55], v[62:63], -v[54:55]
	v_add_f64 v[70:71], v[50:51], v[52:53]
	v_add_f64 v[50:51], v[68:69], v[60:61]
	;; [unrolled: 1-line block ×3, first 2 shown]
	v_fma_f64 v[62:63], -0.5, v[50:51], v[120:121]
	v_add_f64 v[50:51], v[72:73], -v[48:49]
	v_fmac_f64_e32 v[134:135], s[8:9], v[54:55]
	v_fmac_f64_e32 v[6:7], s[8:9], v[54:55]
	v_fma_f64 v[54:55], s[10:11], v[50:51], v[62:63]
	v_add_f64 v[58:59], v[64:65], -v[56:57]
	v_add_f64 v[66:67], v[76:77], -v[68:69]
	;; [unrolled: 1-line block ×3, first 2 shown]
	v_fmac_f64_e32 v[62:63], s[4:5], v[50:51]
	v_fmac_f64_e32 v[54:55], s[12:13], v[58:59]
	v_add_f64 v[66:67], v[66:67], v[74:75]
	v_fmac_f64_e32 v[62:63], s[2:3], v[58:59]
	v_fmac_f64_e32 v[54:55], s[8:9], v[66:67]
	;; [unrolled: 1-line block ×3, first 2 shown]
	v_add_f64 v[66:67], v[76:77], v[52:53]
	v_fmac_f64_e32 v[120:121], -0.5, v[66:67]
	v_fma_f64 v[66:67], s[4:5], v[58:59], v[120:121]
	v_fmac_f64_e32 v[120:121], s[10:11], v[58:59]
	v_fmac_f64_e32 v[66:67], s[12:13], v[50:51]
	;; [unrolled: 1-line block ×3, first 2 shown]
	v_add_f64 v[50:51], v[80:81], v[72:73]
	v_add_f64 v[74:75], v[68:69], -v[76:77]
	v_add_f64 v[78:79], v[60:61], -v[52:53]
	v_add_f64 v[50:51], v[50:51], v[64:65]
	v_add_f64 v[74:75], v[74:75], v[78:79]
	;; [unrolled: 1-line block ×3, first 2 shown]
	v_fmac_f64_e32 v[66:67], s[8:9], v[74:75]
	v_fmac_f64_e32 v[120:121], s[8:9], v[74:75]
	v_add_f64 v[74:75], v[50:51], v[48:49]
	v_add_f64 v[50:51], v[64:65], v[56:57]
	v_fma_f64 v[78:79], -0.5, v[50:51], v[80:81]
	v_add_f64 v[50:51], v[76:77], -v[52:53]
	v_fma_f64 v[76:77], s[4:5], v[50:51], v[78:79]
	v_add_f64 v[52:53], v[68:69], -v[60:61]
	v_add_f64 v[58:59], v[72:73], -v[64:65]
	;; [unrolled: 1-line block ×3, first 2 shown]
	v_fmac_f64_e32 v[78:79], s[10:11], v[50:51]
	v_fmac_f64_e32 v[76:77], s[2:3], v[52:53]
	v_add_f64 v[58:59], v[58:59], v[60:61]
	v_fmac_f64_e32 v[78:79], s[12:13], v[52:53]
	v_fmac_f64_e32 v[76:77], s[8:9], v[58:59]
	v_fmac_f64_e32 v[78:79], s[8:9], v[58:59]
	v_add_f64 v[58:59], v[72:73], v[48:49]
	v_fmac_f64_e32 v[80:81], -0.5, v[58:59]
	v_fma_f64 v[68:69], s[10:11], v[52:53], v[80:81]
	v_add_f64 v[58:59], v[64:65], -v[72:73]
	v_add_f64 v[48:49], v[56:57], -v[48:49]
	v_fmac_f64_e32 v[80:81], s[4:5], v[52:53]
	v_add_f64 v[48:49], v[58:59], v[48:49]
	v_fmac_f64_e32 v[80:81], s[12:13], v[50:51]
	v_fmac_f64_e32 v[80:81], s[8:9], v[48:49]
	;; [unrolled: 1-line block ×3, first 2 shown]
	v_mul_f64 v[138:139], v[80:81], s[10:11]
	v_mul_f64 v[146:147], v[80:81], s[16:17]
	v_fmac_f64_e32 v[68:69], s[8:9], v[48:49]
	v_fmac_f64_e32 v[138:139], s[16:17], v[120:121]
	v_mul_f64 v[142:143], v[76:77], s[18:19]
	v_fmac_f64_e32 v[146:147], s[4:5], v[120:121]
	v_mul_f64 v[120:121], v[78:79], s[14:15]
	v_mul_f64 v[72:73], v[76:77], s[12:13]
	v_mul_f64 v[136:137], v[68:69], s[10:11]
	v_mul_f64 v[140:141], v[78:79], s[12:13]
	v_fmac_f64_e32 v[142:143], s[2:3], v[54:55]
	v_mul_f64 v[144:145], v[68:69], s[8:9]
	v_fmac_f64_e32 v[120:121], s[2:3], v[62:63]
	v_fmac_f64_e32 v[72:73], s[18:19], v[54:55]
	v_fmac_f64_e32 v[136:137], s[8:9], v[66:67]
	v_fmac_f64_e32 v[140:141], s[14:15], v[62:63]
	v_add_f64 v[58:59], v[128:129], v[74:75]
	v_add_f64 v[54:55], v[82:83], v[142:143]
	v_fmac_f64_e32 v[144:145], s[4:5], v[66:67]
	v_add_f64 v[66:67], v[6:7], v[146:147]
	v_add_f64 v[62:63], v[130:131], v[120:121]
	v_add_f64 v[78:79], v[128:129], -v[74:75]
	v_add_f64 v[74:75], v[82:83], -v[142:143]
	;; [unrolled: 1-line block ×4, first 2 shown]
	v_add_f64 v[120:121], v[0:1], v[112:113]
	v_add_f64 v[120:121], v[120:121], v[114:115]
	;; [unrolled: 1-line block ×5, first 2 shown]
	v_add_f64 v[80:81], v[4:5], -v[138:139]
	v_add_f64 v[4:5], v[122:123], -v[140:141]
	v_add_f64 v[122:123], v[120:121], v[118:119]
	v_add_f64 v[120:121], v[114:115], v[116:117]
	;; [unrolled: 1-line block ×3, first 2 shown]
	v_add_f64 v[72:73], v[126:127], -v[72:73]
	v_fma_f64 v[120:121], -0.5, v[120:121], v[0:1]
	v_add_f64 v[126:127], v[104:105], -v[110:111]
	v_add_f64 v[56:57], v[124:125], v[70:71]
	v_add_f64 v[48:49], v[132:133], v[136:137]
	v_add_f64 v[76:77], v[124:125], -v[70:71]
	v_add_f64 v[68:69], v[132:133], -v[136:137]
	v_fma_f64 v[124:125], s[10:11], v[126:127], v[120:121]
	v_add_f64 v[128:129], v[106:107], -v[108:109]
	v_add_f64 v[130:131], v[112:113], -v[114:115]
	;; [unrolled: 1-line block ×3, first 2 shown]
	v_fmac_f64_e32 v[120:121], s[4:5], v[126:127]
	v_fmac_f64_e32 v[124:125], s[12:13], v[128:129]
	v_add_f64 v[130:131], v[130:131], v[132:133]
	v_fmac_f64_e32 v[120:121], s[2:3], v[128:129]
	v_fmac_f64_e32 v[124:125], s[8:9], v[130:131]
	;; [unrolled: 1-line block ×3, first 2 shown]
	v_add_f64 v[130:131], v[112:113], v[118:119]
	v_fmac_f64_e32 v[0:1], -0.5, v[130:131]
	v_add_f64 v[50:51], v[134:135], v[144:145]
	v_add_f64 v[70:71], v[134:135], -v[144:145]
	v_fma_f64 v[130:131], s[4:5], v[128:129], v[0:1]
	v_add_f64 v[132:133], v[114:115], -v[112:113]
	v_add_f64 v[134:135], v[116:117], -v[118:119]
	v_fmac_f64_e32 v[0:1], s[10:11], v[128:129]
	v_add_f64 v[128:129], v[106:107], v[108:109]
	v_fmac_f64_e32 v[130:131], s[12:13], v[126:127]
	v_add_f64 v[132:133], v[132:133], v[134:135]
	v_fmac_f64_e32 v[0:1], s[2:3], v[126:127]
	v_fma_f64 v[128:129], -0.5, v[128:129], v[2:3]
	v_add_f64 v[112:113], v[112:113], -v[118:119]
	v_fmac_f64_e32 v[130:131], s[8:9], v[132:133]
	v_fmac_f64_e32 v[0:1], s[8:9], v[132:133]
	v_fma_f64 v[118:119], s[4:5], v[112:113], v[128:129]
	v_add_f64 v[114:115], v[114:115], -v[116:117]
	v_add_f64 v[116:117], v[104:105], -v[106:107]
	;; [unrolled: 1-line block ×3, first 2 shown]
	v_fmac_f64_e32 v[128:129], s[10:11], v[112:113]
	v_add_f64 v[126:127], v[2:3], v[104:105]
	v_fmac_f64_e32 v[118:119], s[2:3], v[114:115]
	v_add_f64 v[116:117], v[116:117], v[132:133]
	;; [unrolled: 2-line block ×3, first 2 shown]
	v_fmac_f64_e32 v[118:119], s[8:9], v[116:117]
	v_fmac_f64_e32 v[128:129], s[8:9], v[116:117]
	v_add_f64 v[116:117], v[104:105], v[110:111]
	v_add_f64 v[104:105], v[106:107], -v[104:105]
	v_add_f64 v[106:107], v[108:109], -v[110:111]
	v_fmac_f64_e32 v[2:3], -0.5, v[116:117]
	v_add_f64 v[104:105], v[104:105], v[106:107]
	v_add_f64 v[106:107], v[94:95], v[96:97]
	;; [unrolled: 1-line block ×3, first 2 shown]
	v_fma_f64 v[132:133], s[10:11], v[114:115], v[2:3]
	v_fmac_f64_e32 v[2:3], s[4:5], v[114:115]
	v_fma_f64 v[106:107], -0.5, v[106:107], v[98:99]
	v_add_f64 v[108:109], v[84:85], -v[90:91]
	v_add_f64 v[126:127], v[126:127], v[110:111]
	v_fmac_f64_e32 v[132:133], s[2:3], v[112:113]
	v_fmac_f64_e32 v[2:3], s[12:13], v[112:113]
	v_fma_f64 v[110:111], s[10:11], v[108:109], v[106:107]
	v_add_f64 v[112:113], v[86:87], -v[88:89]
	v_add_f64 v[114:115], v[92:93], -v[94:95]
	;; [unrolled: 1-line block ×3, first 2 shown]
	v_fmac_f64_e32 v[106:107], s[4:5], v[108:109]
	v_fmac_f64_e32 v[110:111], s[12:13], v[112:113]
	v_add_f64 v[114:115], v[114:115], v[116:117]
	v_fmac_f64_e32 v[106:107], s[2:3], v[112:113]
	v_fmac_f64_e32 v[110:111], s[8:9], v[114:115]
	;; [unrolled: 1-line block ×3, first 2 shown]
	v_add_f64 v[114:115], v[92:93], v[100:101]
	v_fmac_f64_e32 v[132:133], s[8:9], v[104:105]
	v_fmac_f64_e32 v[2:3], s[8:9], v[104:105]
	v_add_f64 v[104:105], v[98:99], v[92:93]
	v_fmac_f64_e32 v[98:99], -0.5, v[114:115]
	v_fma_f64 v[114:115], s[4:5], v[112:113], v[98:99]
	v_fmac_f64_e32 v[98:99], s[10:11], v[112:113]
	v_fmac_f64_e32 v[114:115], s[12:13], v[108:109]
	;; [unrolled: 1-line block ×3, first 2 shown]
	v_add_f64 v[108:109], v[102:103], v[84:85]
	v_add_f64 v[108:109], v[108:109], v[86:87]
	v_add_f64 v[116:117], v[94:95], -v[92:93]
	v_add_f64 v[134:135], v[96:97], -v[100:101]
	v_add_f64 v[108:109], v[108:109], v[88:89]
	v_add_f64 v[104:105], v[104:105], v[94:95]
	;; [unrolled: 1-line block ×6, first 2 shown]
	v_fma_f64 v[108:109], -0.5, v[108:109], v[102:103]
	v_add_f64 v[92:93], v[92:93], -v[100:101]
	v_add_f64 v[104:105], v[104:105], v[100:101]
	v_fma_f64 v[112:113], s[4:5], v[92:93], v[108:109]
	v_add_f64 v[94:95], v[94:95], -v[96:97]
	v_add_f64 v[96:97], v[84:85], -v[86:87]
	;; [unrolled: 1-line block ×3, first 2 shown]
	v_fmac_f64_e32 v[108:109], s[10:11], v[92:93]
	v_fmac_f64_e32 v[112:113], s[2:3], v[94:95]
	v_add_f64 v[96:97], v[96:97], v[100:101]
	v_fmac_f64_e32 v[108:109], s[12:13], v[94:95]
	v_fmac_f64_e32 v[112:113], s[8:9], v[96:97]
	v_fmac_f64_e32 v[108:109], s[8:9], v[96:97]
	v_add_f64 v[96:97], v[84:85], v[90:91]
	v_fmac_f64_e32 v[102:103], -0.5, v[96:97]
	v_fmac_f64_e32 v[114:115], s[8:9], v[116:117]
	v_fmac_f64_e32 v[98:99], s[8:9], v[116:117]
	v_fma_f64 v[116:117], s[10:11], v[94:95], v[102:103]
	v_add_f64 v[84:85], v[86:87], -v[84:85]
	v_add_f64 v[86:87], v[88:89], -v[90:91]
	v_fmac_f64_e32 v[102:103], s[4:5], v[94:95]
	v_add_f64 v[84:85], v[84:85], v[86:87]
	v_fmac_f64_e32 v[102:103], s[12:13], v[92:93]
	v_fmac_f64_e32 v[116:117], s[2:3], v[92:93]
	;; [unrolled: 1-line block ×4, first 2 shown]
	v_mul_f64 v[140:141], v[102:103], s[10:11]
	v_mul_f64 v[142:143], v[108:109], s[12:13]
	;; [unrolled: 1-line block ×4, first 2 shown]
	v_fmac_f64_e32 v[140:141], s[16:17], v[98:99]
	v_fmac_f64_e32 v[142:143], s[14:15], v[106:107]
	v_mul_f64 v[144:145], v[112:113], s[18:19]
	v_mul_f64 v[146:147], v[116:117], s[8:9]
	;; [unrolled: 1-line block ×4, first 2 shown]
	v_add_f64 v[92:93], v[122:123], v[104:105]
	v_fmac_f64_e32 v[136:137], s[18:19], v[110:111]
	v_fmac_f64_e32 v[138:139], s[8:9], v[114:115]
	v_add_f64 v[100:101], v[0:1], v[140:141]
	v_add_f64 v[96:97], v[120:121], v[142:143]
	v_fmac_f64_e32 v[144:145], s[2:3], v[110:111]
	v_fmac_f64_e32 v[146:147], s[4:5], v[114:115]
	;; [unrolled: 1-line block ×4, first 2 shown]
	v_add_f64 v[112:113], v[122:123], -v[104:105]
	v_add_f64 v[116:117], v[0:1], -v[140:141]
	;; [unrolled: 1-line block ×3, first 2 shown]
	v_accvgpr_read_b32 v120, a234
	v_add_f64 v[88:89], v[124:125], v[136:137]
	v_add_f64 v[84:85], v[130:131], v[138:139]
	;; [unrolled: 1-line block ×7, first 2 shown]
	v_add_f64 v[108:109], v[124:125], -v[136:137]
	v_add_f64 v[104:105], v[130:131], -v[138:139]
	;; [unrolled: 1-line block ×7, first 2 shown]
	v_accvgpr_read_b32 v122, a236
	v_accvgpr_read_b32 v123, a237
	s_barrier
	ds_write_b128 v252, v[16:19]
	ds_write_b128 v252, v[12:15] offset:160
	ds_write_b128 v252, v[8:11] offset:320
	ds_write_b128 v252, v[24:27] offset:480
	ds_write_b128 v252, v[20:23] offset:640
	ds_write_b128 v252, v[36:39] offset:800
	ds_write_b128 v252, v[32:35] offset:960
	ds_write_b128 v252, v[28:31] offset:1120
	ds_write_b128 v252, v[44:47] offset:1280
	ds_write_b128 v252, v[40:43] offset:1440
	ds_write_b128 v251, v[56:59]
	ds_write_b128 v251, v[52:55] offset:160
	ds_write_b128 v251, v[48:51] offset:320
	ds_write_b128 v251, v[64:67] offset:480
	ds_write_b128 v251, v[60:63] offset:640
	ds_write_b128 v251, v[76:79] offset:800
	ds_write_b128 v251, v[72:75] offset:960
	ds_write_b128 v251, v[68:71] offset:1120
	ds_write_b128 v251, v[80:83] offset:1280
	ds_write_b128 v251, v[4:7] offset:1440
	;; [unrolled: 10-line block ×3, first 2 shown]
	s_waitcnt lgkmcnt(0)
	s_barrier
	ds_read_b128 v[16:19], v244
	ds_read_b128 v[116:119], v244 offset:9600
	ds_read_b128 v[112:115], v244 offset:19200
	;; [unrolled: 1-line block ×29, first 2 shown]
	v_accvgpr_read_b32 v121, a235
	s_waitcnt lgkmcnt(14)
	v_mul_f64 v[134:135], v[122:123], v[118:119]
	v_fmac_f64_e32 v[134:135], v[120:121], v[116:117]
	v_mul_f64 v[116:117], v[122:123], v[116:117]
	v_fma_f64 v[140:141], v[120:121], v[118:119], -v[116:117]
	v_accvgpr_read_b32 v119, a83
	v_accvgpr_read_b32 v118, a82
	v_accvgpr_read_b32 v117, a81
	v_accvgpr_read_b32 v116, a80
	v_mul_f64 v[142:143], v[118:119], v[114:115]
	v_fmac_f64_e32 v[142:143], v[116:117], v[112:113]
	v_mul_f64 v[112:113], v[118:119], v[112:113]
	v_fma_f64 v[144:145], v[116:117], v[114:115], -v[112:113]
	v_accvgpr_read_b32 v115, a59
	v_accvgpr_read_b32 v114, a58
	v_accvgpr_read_b32 v113, a57
	v_accvgpr_read_b32 v112, a56
	;; [unrolled: 8-line block ×13, first 2 shown]
	s_waitcnt lgkmcnt(13)
	v_mul_f64 v[70:71], v[82:83], v[66:67]
	v_fmac_f64_e32 v[70:71], v[80:81], v[64:65]
	v_mul_f64 v[64:65], v[82:83], v[64:65]
	v_fma_f64 v[66:67], v[80:81], v[66:67], -v[64:65]
	v_accvgpr_read_b32 v80, a242
	v_accvgpr_read_b32 v82, a244
	v_accvgpr_read_b32 v83, a245
	v_accvgpr_read_b32 v81, a243
	s_waitcnt lgkmcnt(12)
	v_mul_f64 v[64:65], v[82:83], v[62:63]
	v_fmac_f64_e32 v[64:65], v[80:81], v[60:61]
	v_mul_f64 v[60:61], v[82:83], v[60:61]
	v_fma_f64 v[60:61], v[80:81], v[62:63], -v[60:61]
	v_accvgpr_read_b32 v83, a35
	v_accvgpr_read_b32 v82, a34
	v_accvgpr_read_b32 v81, a33
	v_accvgpr_read_b32 v80, a32
	;; [unrolled: 9-line block ×11, first 2 shown]
	s_waitcnt lgkmcnt(0)
	v_mul_f64 v[104:105], v[26:27], v[22:23]
	v_fmac_f64_e32 v[104:105], v[24:25], v[20:21]
	v_mul_f64 v[20:21], v[26:27], v[20:21]
	v_fma_f64 v[108:109], v[24:25], v[22:23], -v[20:21]
	v_add_f64 v[20:21], v[16:17], v[142:143]
	v_add_f64 v[32:33], v[20:21], v[166:167]
	v_add_f64 v[20:21], v[142:143], v[166:167]
	v_fmac_f64_e32 v[16:17], -0.5, v[20:21]
	v_add_f64 v[20:21], v[144:145], -v[170:171]
	v_fma_f64 v[34:35], s[22:23], v[20:21], v[16:17]
	v_fmac_f64_e32 v[16:17], s[6:7], v[20:21]
	v_add_f64 v[20:21], v[18:19], v[144:145]
	v_add_f64 v[38:39], v[20:21], v[170:171]
	v_add_f64 v[20:21], v[144:145], v[170:171]
	v_fmac_f64_e32 v[18:19], -0.5, v[20:21]
	v_add_f64 v[20:21], v[142:143], -v[166:167]
	v_fma_f64 v[40:41], s[6:7], v[20:21], v[18:19]
	v_fmac_f64_e32 v[18:19], s[22:23], v[20:21]
	;; [unrolled: 7-line block ×3, first 2 shown]
	v_add_f64 v[20:21], v[140:141], v[148:149]
	v_add_f64 v[42:43], v[20:21], v[248:249]
	;; [unrolled: 1-line block ×3, first 2 shown]
	v_fmac_f64_e32 v[140:141], -0.5, v[20:21]
	v_add_f64 v[20:21], v[146:147], -v[246:247]
	v_fma_f64 v[30:31], s[6:7], v[20:21], v[140:141]
	v_mul_f64 v[44:45], v[30:31], s[22:23]
	v_mul_f64 v[48:49], v[30:31], 0.5
	v_fmac_f64_e32 v[44:45], 0.5, v[22:23]
	v_fmac_f64_e32 v[48:49], s[6:7], v[22:23]
	v_fmac_f64_e32 v[140:141], s[22:23], v[20:21]
	v_add_f64 v[24:25], v[32:33], v[36:37]
	v_add_f64 v[20:21], v[34:35], v[44:45]
	;; [unrolled: 1-line block ×3, first 2 shown]
	v_add_f64 v[36:37], v[32:33], -v[36:37]
	v_add_f64 v[32:33], v[34:35], -v[44:45]
	;; [unrolled: 1-line block ×3, first 2 shown]
	v_add_f64 v[40:41], v[12:13], v[130:131]
	v_add_f64 v[52:53], v[40:41], v[250:251]
	;; [unrolled: 1-line block ×3, first 2 shown]
	v_fmac_f64_e32 v[12:13], -0.5, v[40:41]
	v_add_f64 v[40:41], v[136:137], -v[254:255]
	v_fma_f64 v[54:55], s[22:23], v[40:41], v[12:13]
	v_fmac_f64_e32 v[12:13], s[6:7], v[40:41]
	v_add_f64 v[40:41], v[14:15], v[136:137]
	v_add_f64 v[58:59], v[40:41], v[254:255]
	;; [unrolled: 1-line block ×3, first 2 shown]
	v_fmac_f64_e32 v[14:15], -0.5, v[40:41]
	v_add_f64 v[40:41], v[130:131], -v[250:251]
	v_fma_f64 v[62:63], s[6:7], v[40:41], v[14:15]
	v_fmac_f64_e32 v[14:15], s[22:23], v[40:41]
	v_add_f64 v[40:41], v[122:123], v[126:127]
	v_add_f64 v[56:57], v[40:41], v[132:133]
	v_add_f64 v[40:41], v[126:127], v[132:133]
	v_fmac_f64_e32 v[122:123], -0.5, v[40:41]
	v_add_f64 v[40:41], v[128:129], -v[138:139]
	v_add_f64 v[26:27], v[38:39], v[42:43]
	v_add_f64 v[38:39], v[38:39], -v[42:43]
	v_fma_f64 v[42:43], s[22:23], v[40:41], v[122:123]
	v_fmac_f64_e32 v[122:123], s[6:7], v[40:41]
	v_add_f64 v[40:41], v[124:125], v[128:129]
	v_mul_f64 v[50:51], v[140:141], -0.5
	v_add_f64 v[130:131], v[40:41], v[138:139]
	v_add_f64 v[40:41], v[128:129], v[138:139]
	v_fmac_f64_e32 v[50:51], s[6:7], v[134:135]
	v_fmac_f64_e32 v[124:125], -0.5, v[40:41]
	v_add_f64 v[40:41], v[126:127], -v[132:133]
	v_add_f64 v[30:31], v[18:19], v[50:51]
	v_add_f64 v[18:19], v[18:19], -v[50:51]
	v_fma_f64 v[50:51], s[6:7], v[40:41], v[124:125]
	v_mul_f64 v[126:127], v[50:51], s[22:23]
	v_mul_f64 v[132:133], v[50:51], 0.5
	v_fmac_f64_e32 v[124:125], s[22:23], v[40:41]
	v_fmac_f64_e32 v[126:127], 0.5, v[42:43]
	v_fmac_f64_e32 v[132:133], s[6:7], v[42:43]
	v_add_f64 v[44:45], v[52:53], v[56:57]
	v_add_f64 v[40:41], v[54:55], v[126:127]
	v_mul_f64 v[128:129], v[124:125], s[22:23]
	v_add_f64 v[42:43], v[62:63], v[132:133]
	v_mul_f64 v[124:125], v[124:125], -0.5
	v_add_f64 v[56:57], v[52:53], -v[56:57]
	v_add_f64 v[52:53], v[54:55], -v[126:127]
	;; [unrolled: 1-line block ×3, first 2 shown]
	v_add_f64 v[62:63], v[8:9], v[78:79]
	v_fmac_f64_e32 v[128:129], -0.5, v[122:123]
	v_fmac_f64_e32 v[124:125], s[6:7], v[122:123]
	v_add_f64 v[122:123], v[62:63], v[70:71]
	v_add_f64 v[62:63], v[78:79], v[70:71]
	v_fmac_f64_e32 v[8:9], -0.5, v[62:63]
	v_add_f64 v[62:63], v[74:75], -v[66:67]
	v_add_f64 v[50:51], v[14:15], v[124:125]
	v_add_f64 v[14:15], v[14:15], -v[124:125]
	v_fma_f64 v[124:125], s[22:23], v[62:63], v[8:9]
	v_fmac_f64_e32 v[8:9], s[6:7], v[62:63]
	v_add_f64 v[62:63], v[10:11], v[74:75]
	v_add_f64 v[126:127], v[62:63], v[66:67]
	;; [unrolled: 1-line block ×3, first 2 shown]
	v_fmac_f64_e32 v[10:11], -0.5, v[62:63]
	v_add_f64 v[62:63], v[78:79], -v[70:71]
	v_fma_f64 v[74:75], s[6:7], v[62:63], v[10:11]
	v_fmac_f64_e32 v[10:11], s[22:23], v[62:63]
	v_add_f64 v[62:63], v[96:97], v[72:73]
	v_add_f64 v[78:79], v[62:63], v[64:65]
	;; [unrolled: 1-line block ×3, first 2 shown]
	v_fmac_f64_e32 v[96:97], -0.5, v[62:63]
	v_add_f64 v[62:63], v[68:69], -v[60:61]
	v_fma_f64 v[70:71], s[22:23], v[62:63], v[96:97]
	v_fmac_f64_e32 v[96:97], s[6:7], v[62:63]
	v_add_f64 v[62:63], v[76:77], v[68:69]
	v_add_f64 v[48:49], v[12:13], v[128:129]
	v_add_f64 v[12:13], v[12:13], -v[128:129]
	v_add_f64 v[128:129], v[62:63], v[60:61]
	v_add_f64 v[60:61], v[68:69], v[60:61]
	v_mul_f64 v[46:47], v[140:141], s[22:23]
	v_fmac_f64_e32 v[76:77], -0.5, v[60:61]
	v_add_f64 v[60:61], v[72:73], -v[64:65]
	v_fmac_f64_e32 v[46:47], -0.5, v[134:135]
	v_fma_f64 v[62:63], s[6:7], v[60:61], v[76:77]
	v_fmac_f64_e32 v[76:77], s[22:23], v[60:61]
	v_add_f64 v[28:29], v[16:17], v[46:47]
	v_add_f64 v[16:17], v[16:17], -v[46:47]
	v_add_f64 v[46:47], v[58:59], v[130:131]
	v_add_f64 v[58:59], v[58:59], -v[130:131]
	v_add_f64 v[64:65], v[122:123], v[78:79]
	v_mul_f64 v[72:73], v[62:63], s[22:23]
	v_mul_f64 v[130:131], v[76:77], s[22:23]
	v_mul_f64 v[134:135], v[76:77], -0.5
	v_add_f64 v[76:77], v[122:123], -v[78:79]
	v_add_f64 v[122:123], v[84:85], v[98:99]
	v_fmac_f64_e32 v[72:73], 0.5, v[70:71]
	v_fmac_f64_e32 v[130:131], -0.5, v[96:97]
	v_fmac_f64_e32 v[134:135], s[6:7], v[96:97]
	v_add_f64 v[96:97], v[4:5], v[84:85]
	v_fmac_f64_e32 v[4:5], -0.5, v[122:123]
	v_add_f64 v[122:123], v[88:89], -v[120:121]
	v_add_f64 v[60:61], v[124:125], v[72:73]
	v_add_f64 v[72:73], v[124:125], -v[72:73]
	v_fma_f64 v[124:125], s[22:23], v[122:123], v[4:5]
	v_fmac_f64_e32 v[4:5], s[6:7], v[122:123]
	v_add_f64 v[122:123], v[6:7], v[88:89]
	v_add_f64 v[88:89], v[88:89], v[120:121]
	v_fmac_f64_e32 v[6:7], -0.5, v[88:89]
	v_add_f64 v[84:85], v[84:85], -v[98:99]
	v_add_f64 v[122:123], v[122:123], v[120:121]
	v_fma_f64 v[120:121], s[6:7], v[84:85], v[6:7]
	v_fmac_f64_e32 v[6:7], s[22:23], v[84:85]
	v_add_f64 v[84:85], v[90:91], v[80:81]
	v_add_f64 v[96:97], v[96:97], v[98:99]
	v_add_f64 v[98:99], v[84:85], v[86:87]
	v_add_f64 v[84:85], v[80:81], v[86:87]
	v_fmac_f64_e32 v[90:91], -0.5, v[84:85]
	v_add_f64 v[84:85], v[82:83], -v[94:95]
	v_add_f64 v[66:67], v[126:127], v[128:129]
	v_add_f64 v[78:79], v[126:127], -v[128:129]
	v_fma_f64 v[126:127], s[22:23], v[84:85], v[90:91]
	v_fmac_f64_e32 v[90:91], s[6:7], v[84:85]
	v_add_f64 v[84:85], v[92:93], v[82:83]
	v_add_f64 v[82:83], v[82:83], v[94:95]
	v_mul_f64 v[132:133], v[62:63], 0.5
	v_fmac_f64_e32 v[92:93], -0.5, v[82:83]
	v_add_f64 v[80:81], v[80:81], -v[86:87]
	v_fmac_f64_e32 v[132:133], s[6:7], v[70:71]
	v_fma_f64 v[82:83], s[6:7], v[80:81], v[92:93]
	v_add_f64 v[62:63], v[74:75], v[132:133]
	v_add_f64 v[74:75], v[74:75], -v[132:133]
	v_add_f64 v[128:129], v[84:85], v[94:95]
	v_mul_f64 v[94:95], v[82:83], s[22:23]
	v_mul_f64 v[132:133], v[82:83], 0.5
	v_fmac_f64_e32 v[92:93], s[22:23], v[80:81]
	v_add_f64 v[84:85], v[96:97], v[98:99]
	v_fmac_f64_e32 v[94:95], 0.5, v[126:127]
	v_add_f64 v[86:87], v[122:123], v[128:129]
	v_fmac_f64_e32 v[132:133], s[6:7], v[126:127]
	v_add_f64 v[96:97], v[96:97], -v[98:99]
	v_add_f64 v[98:99], v[122:123], -v[128:129]
	v_add_f64 v[122:123], v[106:107], v[116:117]
	v_add_f64 v[68:69], v[8:9], v[130:131]
	v_add_f64 v[8:9], v[8:9], -v[130:131]
	v_add_f64 v[80:81], v[124:125], v[94:95]
	v_mul_f64 v[130:131], v[92:93], s[22:23]
	v_add_f64 v[82:83], v[120:121], v[132:133]
	v_mul_f64 v[126:127], v[92:93], -0.5
	v_add_f64 v[92:93], v[124:125], -v[94:95]
	v_add_f64 v[94:95], v[120:121], -v[132:133]
	v_add_f64 v[120:121], v[0:1], v[106:107]
	v_fmac_f64_e32 v[0:1], -0.5, v[122:123]
	v_add_f64 v[122:123], v[114:115], -v[118:119]
	v_fma_f64 v[124:125], s[22:23], v[122:123], v[0:1]
	v_fmac_f64_e32 v[0:1], s[6:7], v[122:123]
	v_add_f64 v[122:123], v[2:3], v[114:115]
	v_add_f64 v[114:115], v[114:115], v[118:119]
	v_fmac_f64_e32 v[2:3], -0.5, v[114:115]
	v_add_f64 v[106:107], v[106:107], -v[116:117]
	v_fma_f64 v[114:115], s[6:7], v[106:107], v[2:3]
	v_fmac_f64_e32 v[2:3], s[22:23], v[106:107]
	v_add_f64 v[106:107], v[110:111], v[100:101]
	v_add_f64 v[120:121], v[120:121], v[116:117]
	;; [unrolled: 1-line block ×4, first 2 shown]
	v_fmac_f64_e32 v[110:111], -0.5, v[106:107]
	v_add_f64 v[106:107], v[102:103], -v[108:109]
	v_add_f64 v[122:123], v[122:123], v[118:119]
	v_fma_f64 v[118:119], s[22:23], v[106:107], v[110:111]
	v_fmac_f64_e32 v[110:111], s[6:7], v[106:107]
	v_add_f64 v[106:107], v[112:113], v[102:103]
	v_add_f64 v[102:103], v[102:103], v[108:109]
	v_fmac_f64_e32 v[112:113], -0.5, v[102:103]
	v_add_f64 v[100:101], v[100:101], -v[104:105]
	v_fmac_f64_e32 v[130:131], -0.5, v[90:91]
	v_fmac_f64_e32 v[126:127], s[6:7], v[90:91]
	v_fma_f64 v[102:103], s[6:7], v[100:101], v[112:113]
	v_fmac_f64_e32 v[112:113], s[22:23], v[100:101]
	v_add_f64 v[70:71], v[10:11], v[134:135]
	v_add_f64 v[10:11], v[10:11], -v[134:135]
	v_add_f64 v[88:89], v[4:5], v[130:131]
	v_add_f64 v[90:91], v[6:7], v[126:127]
	v_add_f64 v[4:5], v[4:5], -v[130:131]
	v_add_f64 v[6:7], v[6:7], -v[126:127]
	v_add_f64 v[126:127], v[106:107], v[108:109]
	v_mul_f64 v[128:129], v[102:103], s[22:23]
	v_mul_f64 v[130:131], v[112:113], s[22:23]
	v_mul_f64 v[132:133], v[102:103], 0.5
	v_mul_f64 v[134:135], v[112:113], -0.5
	s_barrier
	ds_write_b128 v175, v[24:27]
	ds_write_b128 v175, v[20:23] offset:1600
	ds_write_b128 v175, v[28:31] offset:3200
	;; [unrolled: 1-line block ×5, first 2 shown]
	ds_write_b128 v253, v[44:47]
	ds_write_b128 v253, v[40:43] offset:1600
	ds_write_b128 v253, v[48:51] offset:3200
	ds_write_b128 v253, v[56:59] offset:4800
	ds_write_b128 v253, v[52:55] offset:6400
	ds_write_b128 v253, v[12:15] offset:8000
	v_accvgpr_read_b32 v12, a96
	v_add_f64 v[104:105], v[120:121], v[116:117]
	v_fmac_f64_e32 v[128:129], 0.5, v[118:119]
	v_fmac_f64_e32 v[130:131], -0.5, v[110:111]
	v_add_f64 v[106:107], v[122:123], v[126:127]
	v_fmac_f64_e32 v[132:133], s[6:7], v[118:119]
	v_fmac_f64_e32 v[134:135], s[6:7], v[110:111]
	v_add_f64 v[116:117], v[120:121], -v[116:117]
	v_add_f64 v[118:119], v[122:123], -v[126:127]
	ds_write_b128 v12, v[64:67]
	ds_write_b128 v12, v[60:63] offset:1600
	ds_write_b128 v12, v[68:71] offset:3200
	;; [unrolled: 1-line block ×5, first 2 shown]
	v_accvgpr_read_b32 v8, a97
	v_accvgpr_read_b32 v123, a15
	v_add_f64 v[100:101], v[124:125], v[128:129]
	v_add_f64 v[108:109], v[0:1], v[130:131]
	;; [unrolled: 1-line block ×4, first 2 shown]
	v_add_f64 v[112:113], v[124:125], -v[128:129]
	v_add_f64 v[0:1], v[0:1], -v[130:131]
	;; [unrolled: 1-line block ×4, first 2 shown]
	ds_write_b128 v8, v[84:87]
	ds_write_b128 v8, v[80:83] offset:1600
	ds_write_b128 v8, v[88:91] offset:3200
	;; [unrolled: 1-line block ×5, first 2 shown]
	v_accvgpr_read_b32 v4, a98
	v_accvgpr_read_b32 v122, a14
	ds_write_b128 v4, v[104:107]
	ds_write_b128 v4, v[100:103] offset:1600
	ds_write_b128 v4, v[108:111] offset:3200
	;; [unrolled: 1-line block ×5, first 2 shown]
	s_waitcnt lgkmcnt(0)
	s_barrier
	ds_read_b128 v[36:39], v244
	ds_read_b128 v[112:115], v244 offset:9600
	ds_read_b128 v[116:119], v244 offset:19200
	;; [unrolled: 1-line block ×29, first 2 shown]
	v_accvgpr_read_b32 v121, a13
	v_accvgpr_read_b32 v120, a12
	s_waitcnt lgkmcnt(14)
	v_mul_f64 v[138:139], v[122:123], v[114:115]
	v_fmac_f64_e32 v[138:139], v[120:121], v[112:113]
	v_mul_f64 v[112:113], v[122:123], v[112:113]
	v_fma_f64 v[140:141], v[120:121], v[114:115], -v[112:113]
	v_accvgpr_read_b32 v123, a11
	v_accvgpr_read_b32 v122, a10
	;; [unrolled: 1-line block ×4, first 2 shown]
	v_mul_f64 v[112:113], v[122:123], v[116:117]
	v_fma_f64 v[144:145], v[120:121], v[118:119], -v[112:113]
	v_accvgpr_read_b32 v115, a7
	v_accvgpr_read_b32 v114, a6
	;; [unrolled: 1-line block ×4, first 2 shown]
	v_mul_f64 v[146:147], v[114:115], v[110:111]
	v_fmac_f64_e32 v[146:147], v[112:113], v[108:109]
	v_mul_f64 v[108:109], v[114:115], v[108:109]
	v_fma_f64 v[148:149], v[112:113], v[110:111], -v[108:109]
	v_accvgpr_read_b32 v111, a3
	v_accvgpr_read_b32 v110, a2
	;; [unrolled: 1-line block ×4, first 2 shown]
	v_mul_f64 v[166:167], v[110:111], v[106:107]
	v_fmac_f64_e32 v[166:167], v[108:109], v[104:105]
	v_mul_f64 v[104:105], v[110:111], v[104:105]
	v_mul_f64 v[142:143], v[122:123], v[118:119]
	v_fma_f64 v[170:171], v[108:109], v[106:107], -v[104:105]
	s_waitcnt lgkmcnt(0)
	v_mul_f64 v[104:105], v[206:207], v[14:15]
	v_fmac_f64_e32 v[142:143], v[120:121], v[116:117]
	v_mul_f64 v[106:107], v[218:219], v[30:31]
	v_fmac_f64_e32 v[104:105], v[204:205], v[12:13]
	v_mul_f64 v[12:13], v[206:207], v[12:13]
	v_mul_f64 v[122:123], v[152:153], v[98:99]
	v_fmac_f64_e32 v[106:107], v[216:217], v[28:29]
	v_mul_f64 v[28:29], v[218:219], v[28:29]
	v_fma_f64 v[108:109], v[204:205], v[14:15], -v[12:13]
	v_add_f64 v[12:13], v[36:37], v[142:143]
	v_fmac_f64_e32 v[122:123], v[150:151], v[96:97]
	v_mul_f64 v[96:97], v[152:153], v[96:97]
	v_fma_f64 v[114:115], v[216:217], v[30:31], -v[28:29]
	v_add_f64 v[28:29], v[12:13], v[166:167]
	v_add_f64 v[12:13], v[142:143], v[166:167]
	v_fma_f64 v[124:125], v[150:151], v[98:99], -v[96:97]
	v_mul_f64 v[150:151], v[222:223], v[86:87]
	v_mul_f64 v[110:111], v[202:203], v[34:35]
	v_fmac_f64_e32 v[36:37], -0.5, v[12:13]
	v_add_f64 v[12:13], v[144:145], -v[170:171]
	v_fmac_f64_e32 v[150:151], v[220:221], v[84:85]
	v_mul_f64 v[84:85], v[222:223], v[84:85]
	v_fmac_f64_e32 v[110:111], v[200:201], v[32:33]
	v_mul_f64 v[32:33], v[202:203], v[32:33]
	v_fma_f64 v[30:31], s[22:23], v[12:13], v[36:37]
	v_fmac_f64_e32 v[36:37], s[6:7], v[12:13]
	v_add_f64 v[12:13], v[38:39], v[144:145]
	v_mul_f64 v[130:131], v[160:161], v[94:95]
	v_fma_f64 v[152:153], v[220:221], v[86:87], -v[84:85]
	v_mul_f64 v[86:87], v[214:215], v[42:43]
	v_fma_f64 v[112:113], v[200:201], v[34:35], -v[32:33]
	v_add_f64 v[34:35], v[12:13], v[170:171]
	v_add_f64 v[12:13], v[144:145], v[170:171]
	v_mul_f64 v[174:175], v[156:157], v[102:103]
	v_fmac_f64_e32 v[130:131], v[158:159], v[92:93]
	v_mul_f64 v[92:93], v[160:161], v[92:93]
	v_fmac_f64_e32 v[86:87], v[212:213], v[40:41]
	v_mul_f64 v[40:41], v[214:215], v[40:41]
	v_fmac_f64_e32 v[38:39], -0.5, v[12:13]
	v_add_f64 v[12:13], v[142:143], -v[166:167]
	v_fmac_f64_e32 v[174:175], v[154:155], v[100:101]
	v_mul_f64 v[100:101], v[156:157], v[100:101]
	v_fma_f64 v[134:135], v[158:159], v[94:95], -v[92:93]
	v_fma_f64 v[94:95], v[212:213], v[42:43], -v[40:41]
	v_fma_f64 v[40:41], s[6:7], v[12:13], v[38:39]
	v_fmac_f64_e32 v[38:39], s[22:23], v[12:13]
	v_add_f64 v[12:13], v[138:139], v[146:147]
	v_fma_f64 v[154:155], v[154:155], v[102:103], -v[100:101]
	v_add_f64 v[32:33], v[12:13], v[174:175]
	v_add_f64 v[12:13], v[146:147], v[174:175]
	v_fmac_f64_e32 v[138:139], -0.5, v[12:13]
	v_add_f64 v[12:13], v[148:149], -v[154:155]
	v_mul_f64 v[132:133], v[178:179], v[82:83]
	v_fma_f64 v[14:15], s[22:23], v[12:13], v[138:139]
	v_fmac_f64_e32 v[138:139], s[6:7], v[12:13]
	v_add_f64 v[12:13], v[140:141], v[148:149]
	v_fmac_f64_e32 v[132:133], v[176:177], v[80:81]
	v_mul_f64 v[80:81], v[178:179], v[80:81]
	v_mul_f64 v[100:101], v[230:231], v[22:23]
	v_add_f64 v[42:43], v[12:13], v[154:155]
	v_add_f64 v[12:13], v[148:149], v[154:155]
	v_fma_f64 v[136:137], v[176:177], v[82:83], -v[80:81]
	v_mul_f64 v[96:97], v[164:165], v[78:79]
	v_mul_f64 v[80:81], v[226:227], v[50:51]
	;; [unrolled: 1-line block ×3, first 2 shown]
	v_fmac_f64_e32 v[100:101], v[228:229], v[20:21]
	v_mul_f64 v[20:21], v[230:231], v[20:21]
	v_fmac_f64_e32 v[140:141], -0.5, v[12:13]
	v_add_f64 v[12:13], v[146:147], -v[174:175]
	v_fmac_f64_e32 v[96:97], v[162:163], v[76:77]
	v_mul_f64 v[76:77], v[164:165], v[76:77]
	v_fmac_f64_e32 v[80:81], v[224:225], v[48:49]
	v_mul_f64 v[48:49], v[226:227], v[48:49]
	;; [unrolled: 2-line block ×3, first 2 shown]
	v_fma_f64 v[102:103], v[228:229], v[22:23], -v[20:21]
	v_fma_f64 v[22:23], s[6:7], v[12:13], v[140:141]
	v_fma_f64 v[76:77], v[162:163], v[78:79], -v[76:77]
	v_mul_f64 v[78:79], v[186:187], v[74:75]
	v_fma_f64 v[82:83], v[224:225], v[50:51], -v[48:49]
	v_fma_f64 v[120:121], v[236:237], v[46:47], -v[44:45]
	v_mul_f64 v[116:117], v[242:243], v[18:19]
	v_mul_f64 v[44:45], v[22:23], s[22:23]
	v_mul_f64 v[48:49], v[22:23], 0.5
	v_mul_f64 v[126:127], v[194:195], v[90:91]
	v_fmac_f64_e32 v[78:79], v[184:185], v[72:73]
	v_mul_f64 v[72:73], v[186:187], v[72:73]
	v_mul_f64 v[84:85], v[198:199], v[54:55]
	v_fmac_f64_e32 v[116:117], v[240:241], v[16:17]
	v_mul_f64 v[16:17], v[242:243], v[16:17]
	v_fmac_f64_e32 v[44:45], 0.5, v[14:15]
	v_fmac_f64_e32 v[48:49], s[6:7], v[14:15]
	v_fmac_f64_e32 v[126:127], v[192:193], v[88:89]
	v_mul_f64 v[88:89], v[194:195], v[88:89]
	v_fma_f64 v[74:75], v[184:185], v[74:75], -v[72:73]
	v_mul_f64 v[72:73], v[210:211], v[70:71]
	v_fmac_f64_e32 v[84:85], v[196:197], v[52:53]
	v_mul_f64 v[52:53], v[198:199], v[52:53]
	v_fma_f64 v[118:119], v[240:241], v[18:19], -v[16:17]
	v_fmac_f64_e32 v[140:141], s[22:23], v[12:13]
	v_add_f64 v[16:17], v[28:29], v[32:33]
	v_add_f64 v[12:13], v[30:31], v[44:45]
	;; [unrolled: 1-line block ×3, first 2 shown]
	v_add_f64 v[32:33], v[28:29], -v[32:33]
	v_add_f64 v[28:29], v[30:31], -v[44:45]
	;; [unrolled: 1-line block ×3, first 2 shown]
	v_add_f64 v[40:41], v[24:25], v[130:131]
	v_fma_f64 v[128:129], v[192:193], v[90:91], -v[88:89]
	v_fmac_f64_e32 v[72:73], v[208:209], v[68:69]
	v_mul_f64 v[68:69], v[210:211], v[68:69]
	v_fma_f64 v[88:89], v[196:197], v[54:55], -v[52:53]
	v_add_f64 v[52:53], v[40:41], v[150:151]
	v_add_f64 v[40:41], v[130:131], v[150:151]
	v_fma_f64 v[68:69], v[208:209], v[70:71], -v[68:69]
	v_mul_f64 v[70:71], v[234:235], v[66:67]
	v_mul_f64 v[90:91], v[182:183], v[58:59]
	v_fmac_f64_e32 v[24:25], -0.5, v[40:41]
	v_add_f64 v[40:41], v[134:135], -v[152:153]
	v_fmac_f64_e32 v[70:71], v[232:233], v[64:65]
	v_mul_f64 v[64:65], v[234:235], v[64:65]
	v_fmac_f64_e32 v[90:91], v[180:181], v[56:57]
	v_mul_f64 v[56:57], v[182:183], v[56:57]
	v_fma_f64 v[54:55], s[22:23], v[40:41], v[24:25]
	v_fmac_f64_e32 v[24:25], s[6:7], v[40:41]
	v_add_f64 v[40:41], v[26:27], v[134:135]
	v_fma_f64 v[66:67], v[232:233], v[66:67], -v[64:65]
	v_mul_f64 v[64:65], v[190:191], v[62:63]
	v_fma_f64 v[92:93], v[180:181], v[58:59], -v[56:57]
	v_add_f64 v[58:59], v[40:41], v[152:153]
	v_add_f64 v[40:41], v[134:135], v[152:153]
	v_fmac_f64_e32 v[64:65], v[188:189], v[60:61]
	v_mul_f64 v[60:61], v[190:191], v[60:61]
	v_fmac_f64_e32 v[26:27], -0.5, v[40:41]
	v_add_f64 v[40:41], v[130:131], -v[150:151]
	v_fma_f64 v[60:61], v[188:189], v[62:63], -v[60:61]
	v_fma_f64 v[62:63], s[6:7], v[40:41], v[26:27]
	v_fmac_f64_e32 v[26:27], s[22:23], v[40:41]
	v_add_f64 v[40:41], v[122:123], v[126:127]
	v_add_f64 v[56:57], v[40:41], v[132:133]
	;; [unrolled: 1-line block ×3, first 2 shown]
	v_fmac_f64_e32 v[122:123], -0.5, v[40:41]
	v_add_f64 v[40:41], v[128:129], -v[136:137]
	v_add_f64 v[18:19], v[34:35], v[42:43]
	v_add_f64 v[34:35], v[34:35], -v[42:43]
	v_fma_f64 v[42:43], s[22:23], v[40:41], v[122:123]
	v_fmac_f64_e32 v[122:123], s[6:7], v[40:41]
	v_add_f64 v[40:41], v[124:125], v[128:129]
	v_mul_f64 v[50:51], v[140:141], -0.5
	v_add_f64 v[130:131], v[40:41], v[136:137]
	v_add_f64 v[40:41], v[128:129], v[136:137]
	v_fmac_f64_e32 v[50:51], s[6:7], v[138:139]
	v_fmac_f64_e32 v[124:125], -0.5, v[40:41]
	v_add_f64 v[40:41], v[126:127], -v[132:133]
	v_add_f64 v[22:23], v[38:39], v[50:51]
	v_add_f64 v[38:39], v[38:39], -v[50:51]
	v_fma_f64 v[50:51], s[6:7], v[40:41], v[124:125]
	v_mul_f64 v[126:127], v[50:51], s[22:23]
	v_mul_f64 v[132:133], v[50:51], 0.5
	v_fmac_f64_e32 v[124:125], s[22:23], v[40:41]
	v_fmac_f64_e32 v[126:127], 0.5, v[42:43]
	v_fmac_f64_e32 v[132:133], s[6:7], v[42:43]
	v_add_f64 v[44:45], v[52:53], v[56:57]
	v_add_f64 v[40:41], v[54:55], v[126:127]
	v_mul_f64 v[128:129], v[124:125], s[22:23]
	v_add_f64 v[42:43], v[62:63], v[132:133]
	v_mul_f64 v[124:125], v[124:125], -0.5
	v_add_f64 v[56:57], v[52:53], -v[56:57]
	v_add_f64 v[52:53], v[54:55], -v[126:127]
	;; [unrolled: 1-line block ×3, first 2 shown]
	v_add_f64 v[62:63], v[8:9], v[78:79]
	v_fmac_f64_e32 v[128:129], -0.5, v[122:123]
	v_fmac_f64_e32 v[124:125], s[6:7], v[122:123]
	v_add_f64 v[122:123], v[62:63], v[70:71]
	v_add_f64 v[62:63], v[78:79], v[70:71]
	v_fmac_f64_e32 v[8:9], -0.5, v[62:63]
	v_add_f64 v[62:63], v[74:75], -v[66:67]
	v_add_f64 v[50:51], v[26:27], v[124:125]
	v_add_f64 v[26:27], v[26:27], -v[124:125]
	v_fma_f64 v[124:125], s[22:23], v[62:63], v[8:9]
	v_fmac_f64_e32 v[8:9], s[6:7], v[62:63]
	v_add_f64 v[62:63], v[10:11], v[74:75]
	v_add_f64 v[126:127], v[62:63], v[66:67]
	;; [unrolled: 1-line block ×3, first 2 shown]
	v_fmac_f64_e32 v[10:11], -0.5, v[62:63]
	v_add_f64 v[62:63], v[78:79], -v[70:71]
	v_fma_f64 v[74:75], s[6:7], v[62:63], v[10:11]
	v_fmac_f64_e32 v[10:11], s[22:23], v[62:63]
	v_add_f64 v[62:63], v[96:97], v[72:73]
	v_add_f64 v[78:79], v[62:63], v[64:65]
	;; [unrolled: 1-line block ×3, first 2 shown]
	v_fmac_f64_e32 v[96:97], -0.5, v[62:63]
	v_add_f64 v[62:63], v[68:69], -v[60:61]
	v_fma_f64 v[70:71], s[22:23], v[62:63], v[96:97]
	v_fmac_f64_e32 v[96:97], s[6:7], v[62:63]
	v_add_f64 v[62:63], v[76:77], v[68:69]
	v_add_f64 v[48:49], v[24:25], v[128:129]
	v_add_f64 v[24:25], v[24:25], -v[128:129]
	v_add_f64 v[128:129], v[62:63], v[60:61]
	v_add_f64 v[60:61], v[68:69], v[60:61]
	v_mul_f64 v[46:47], v[140:141], s[22:23]
	v_fmac_f64_e32 v[76:77], -0.5, v[60:61]
	v_add_f64 v[60:61], v[72:73], -v[64:65]
	v_fmac_f64_e32 v[46:47], -0.5, v[138:139]
	v_fma_f64 v[62:63], s[6:7], v[60:61], v[76:77]
	v_fmac_f64_e32 v[76:77], s[22:23], v[60:61]
	v_add_f64 v[20:21], v[36:37], v[46:47]
	v_add_f64 v[36:37], v[36:37], -v[46:47]
	v_add_f64 v[46:47], v[58:59], v[130:131]
	v_add_f64 v[58:59], v[58:59], -v[130:131]
	v_add_f64 v[64:65], v[122:123], v[78:79]
	v_mul_f64 v[72:73], v[62:63], s[22:23]
	v_mul_f64 v[130:131], v[76:77], s[22:23]
	v_mul_f64 v[134:135], v[76:77], -0.5
	v_add_f64 v[76:77], v[122:123], -v[78:79]
	v_add_f64 v[122:123], v[84:85], v[98:99]
	v_fmac_f64_e32 v[72:73], 0.5, v[70:71]
	v_fmac_f64_e32 v[130:131], -0.5, v[96:97]
	v_fmac_f64_e32 v[134:135], s[6:7], v[96:97]
	v_add_f64 v[96:97], v[4:5], v[84:85]
	v_fmac_f64_e32 v[4:5], -0.5, v[122:123]
	v_add_f64 v[122:123], v[88:89], -v[120:121]
	v_add_f64 v[60:61], v[124:125], v[72:73]
	v_add_f64 v[72:73], v[124:125], -v[72:73]
	v_fma_f64 v[124:125], s[22:23], v[122:123], v[4:5]
	v_fmac_f64_e32 v[4:5], s[6:7], v[122:123]
	v_add_f64 v[122:123], v[6:7], v[88:89]
	v_add_f64 v[88:89], v[88:89], v[120:121]
	v_fmac_f64_e32 v[6:7], -0.5, v[88:89]
	v_add_f64 v[84:85], v[84:85], -v[98:99]
	v_add_f64 v[122:123], v[122:123], v[120:121]
	v_fma_f64 v[120:121], s[6:7], v[84:85], v[6:7]
	v_fmac_f64_e32 v[6:7], s[22:23], v[84:85]
	v_add_f64 v[84:85], v[90:91], v[80:81]
	v_add_f64 v[96:97], v[96:97], v[98:99]
	;; [unrolled: 1-line block ×4, first 2 shown]
	v_fmac_f64_e32 v[90:91], -0.5, v[84:85]
	v_add_f64 v[84:85], v[82:83], -v[94:95]
	v_add_f64 v[66:67], v[126:127], v[128:129]
	v_add_f64 v[78:79], v[126:127], -v[128:129]
	v_fma_f64 v[126:127], s[22:23], v[84:85], v[90:91]
	v_fmac_f64_e32 v[90:91], s[6:7], v[84:85]
	v_add_f64 v[84:85], v[92:93], v[82:83]
	v_add_f64 v[82:83], v[82:83], v[94:95]
	v_mul_f64 v[132:133], v[62:63], 0.5
	v_fmac_f64_e32 v[92:93], -0.5, v[82:83]
	v_add_f64 v[80:81], v[80:81], -v[86:87]
	v_fmac_f64_e32 v[132:133], s[6:7], v[70:71]
	v_fma_f64 v[82:83], s[6:7], v[80:81], v[92:93]
	v_add_f64 v[62:63], v[74:75], v[132:133]
	v_add_f64 v[74:75], v[74:75], -v[132:133]
	v_add_f64 v[128:129], v[84:85], v[94:95]
	v_mul_f64 v[94:95], v[82:83], s[22:23]
	v_mul_f64 v[132:133], v[82:83], 0.5
	v_fmac_f64_e32 v[92:93], s[22:23], v[80:81]
	v_add_f64 v[84:85], v[96:97], v[98:99]
	v_fmac_f64_e32 v[94:95], 0.5, v[126:127]
	v_add_f64 v[86:87], v[122:123], v[128:129]
	v_fmac_f64_e32 v[132:133], s[6:7], v[126:127]
	v_add_f64 v[96:97], v[96:97], -v[98:99]
	v_add_f64 v[98:99], v[122:123], -v[128:129]
	v_add_f64 v[122:123], v[106:107], v[116:117]
	v_add_f64 v[68:69], v[8:9], v[130:131]
	v_add_f64 v[8:9], v[8:9], -v[130:131]
	v_add_f64 v[80:81], v[124:125], v[94:95]
	v_mul_f64 v[130:131], v[92:93], s[22:23]
	v_add_f64 v[82:83], v[120:121], v[132:133]
	v_mul_f64 v[126:127], v[92:93], -0.5
	v_add_f64 v[92:93], v[124:125], -v[94:95]
	v_add_f64 v[94:95], v[120:121], -v[132:133]
	v_add_f64 v[120:121], v[0:1], v[106:107]
	v_fmac_f64_e32 v[0:1], -0.5, v[122:123]
	v_add_f64 v[122:123], v[114:115], -v[118:119]
	v_fma_f64 v[124:125], s[22:23], v[122:123], v[0:1]
	v_fmac_f64_e32 v[0:1], s[6:7], v[122:123]
	v_add_f64 v[122:123], v[2:3], v[114:115]
	v_add_f64 v[114:115], v[114:115], v[118:119]
	v_fmac_f64_e32 v[2:3], -0.5, v[114:115]
	v_add_f64 v[106:107], v[106:107], -v[116:117]
	v_fma_f64 v[114:115], s[6:7], v[106:107], v[2:3]
	v_fmac_f64_e32 v[2:3], s[22:23], v[106:107]
	v_add_f64 v[106:107], v[110:111], v[100:101]
	v_add_f64 v[120:121], v[120:121], v[116:117]
	;; [unrolled: 1-line block ×4, first 2 shown]
	v_fmac_f64_e32 v[110:111], -0.5, v[106:107]
	v_add_f64 v[106:107], v[102:103], -v[108:109]
	v_add_f64 v[122:123], v[122:123], v[118:119]
	v_fma_f64 v[118:119], s[22:23], v[106:107], v[110:111]
	v_fmac_f64_e32 v[110:111], s[6:7], v[106:107]
	v_add_f64 v[106:107], v[112:113], v[102:103]
	v_add_f64 v[102:103], v[102:103], v[108:109]
	v_fmac_f64_e32 v[112:113], -0.5, v[102:103]
	v_add_f64 v[100:101], v[100:101], -v[104:105]
	v_fmac_f64_e32 v[130:131], -0.5, v[90:91]
	v_fma_f64 v[102:103], s[6:7], v[100:101], v[112:113]
	v_fmac_f64_e32 v[112:113], s[22:23], v[100:101]
	v_add_f64 v[70:71], v[10:11], v[134:135]
	v_add_f64 v[10:11], v[10:11], -v[134:135]
	v_add_f64 v[88:89], v[4:5], v[130:131]
	v_fmac_f64_e32 v[126:127], s[6:7], v[90:91]
	v_add_f64 v[4:5], v[4:5], -v[130:131]
	v_mul_f64 v[128:129], v[102:103], s[22:23]
	v_mul_f64 v[130:131], v[112:113], s[22:23]
	v_mul_f64 v[132:133], v[102:103], 0.5
	v_mul_f64 v[134:135], v[112:113], -0.5
	v_add_f64 v[90:91], v[6:7], v[126:127]
	v_add_f64 v[6:7], v[6:7], -v[126:127]
	v_add_f64 v[126:127], v[106:107], v[108:109]
	v_fmac_f64_e32 v[128:129], 0.5, v[118:119]
	v_fmac_f64_e32 v[130:131], -0.5, v[110:111]
	v_fmac_f64_e32 v[132:133], s[6:7], v[118:119]
	v_fmac_f64_e32 v[134:135], s[6:7], v[110:111]
	v_add_f64 v[104:105], v[120:121], v[116:117]
	v_add_f64 v[100:101], v[124:125], v[128:129]
	;; [unrolled: 1-line block ×6, first 2 shown]
	v_add_f64 v[116:117], v[120:121], -v[116:117]
	v_add_f64 v[112:113], v[124:125], -v[128:129]
	;; [unrolled: 1-line block ×6, first 2 shown]
	ds_write_b128 v244, v[16:19]
	ds_write_b128 v244, v[12:15] offset:9600
	ds_write_b128 v244, v[20:23] offset:19200
	;; [unrolled: 1-line block ×29, first 2 shown]
	v_accvgpr_read_b32 v9, a101             ;  Reload Reuse
	s_waitcnt lgkmcnt(0)
	s_barrier
	scratch_load_dwordx3 v[6:8], off, off offset:20 ; 12-byte Folded Reload
	scratch_load_dwordx4 v[12:15], off, off offset:36 ; 16-byte Folded Reload
	ds_read_b128 v[0:3], v244
	s_mov_b32 s2, 0x789abcdf
	s_mov_b32 s3, 0x3f323456
	scratch_load_dwordx4 v[16:19], off, off offset:84 ; 16-byte Folded Reload
	s_waitcnt vmcnt(2) lgkmcnt(0)
	v_mul_f64 v[4:5], v[8:9], v[2:3]
	v_fmac_f64_e32 v[4:5], v[6:7], v[0:1]
	v_mul_f64 v[0:1], v[8:9], v[0:1]
	v_fma_f64 v[0:1], v[6:7], v[2:3], -v[0:1]
	v_mad_u64_u32 v[2:3], s[4:5], s0, v172, 0
	v_mul_f64 v[6:7], v[0:1], s[2:3]
	v_mov_b32_e32 v0, v3
	v_mad_u64_u32 v[0:1], s[4:5], s1, v172, v[0:1]
	v_mov_b32_e32 v3, v0
	v_accvgpr_read_b32 v8, a254
	v_accvgpr_read_b32 v1, a99              ;  Reload Reuse
	v_accvgpr_read_b32 v9, a255
	v_accvgpr_read_b32 v0, a100             ;  Reload Reuse
	v_lshl_add_u64 v[0:1], v[8:9], 4, v[0:1]
	v_mul_f64 v[4:5], v[4:5], s[2:3]
	v_lshl_add_u64 v[10:11], v[2:3], 4, v[0:1]
	global_store_dwordx4 v[10:11], v[4:7], off
	ds_read_b128 v[2:5], v244 offset:5760
	v_mad_u64_u32 v[10:11], s[4:5], s0, v168, v[10:11]
	s_mul_i32 s4, s1, 0x1680
	s_nop 0
	v_add_u32_e32 v11, s4, v11
	s_waitcnt vmcnt(2) lgkmcnt(0)
	v_mul_f64 v[6:7], v[14:15], v[4:5]
	v_fmac_f64_e32 v[6:7], v[12:13], v[2:3]
	v_mul_f64 v[2:3], v[14:15], v[2:3]
	v_fma_f64 v[2:3], v[12:13], v[4:5], -v[2:3]
	scratch_load_dwordx4 v[12:15], off, off offset:100 ; 16-byte Folded Reload
	v_mul_f64 v[8:9], v[2:3], s[2:3]
	ds_read_b128 v[2:5], v244 offset:11520
	v_mul_f64 v[6:7], v[6:7], s[2:3]
	global_store_dwordx4 v[10:11], v[6:9], off
	v_mad_u64_u32 v[10:11], s[6:7], s0, v168, v[10:11]
	v_add_u32_e32 v11, s4, v11
	s_mul_i32 s5, s1, 0xffff3d00
	s_sub_i32 s5, s5, s0
	s_waitcnt vmcnt(1) lgkmcnt(0)
	v_mul_f64 v[6:7], v[14:15], v[4:5]
	v_fmac_f64_e32 v[6:7], v[12:13], v[2:3]
	v_mul_f64 v[2:3], v[14:15], v[2:3]
	v_fma_f64 v[2:3], v[12:13], v[4:5], -v[2:3]
	scratch_load_dwordx4 v[12:15], off, off offset:116 ; 16-byte Folded Reload
	v_mul_f64 v[8:9], v[2:3], s[2:3]
	ds_read_b128 v[2:5], v244 offset:17280
	v_mul_f64 v[6:7], v[6:7], s[2:3]
	global_store_dwordx4 v[10:11], v[6:9], off
	v_mad_u64_u32 v[10:11], s[6:7], s0, v168, v[10:11]
	v_add_u32_e32 v11, s4, v11
	s_waitcnt vmcnt(1) lgkmcnt(0)
	v_mul_f64 v[6:7], v[14:15], v[4:5]
	v_fmac_f64_e32 v[6:7], v[12:13], v[2:3]
	v_mul_f64 v[2:3], v[14:15], v[2:3]
	v_fma_f64 v[2:3], v[12:13], v[4:5], -v[2:3]
	scratch_load_dwordx4 v[12:15], off, off offset:276 ; 16-byte Folded Reload
	v_mul_f64 v[8:9], v[2:3], s[2:3]
	ds_read_b128 v[2:5], v244 offset:23040
	v_mul_f64 v[6:7], v[6:7], s[2:3]
	global_store_dwordx4 v[10:11], v[6:9], off
	v_mad_u64_u32 v[10:11], s[6:7], s0, v168, v[10:11]
	v_add_u32_e32 v11, s4, v11
	;; [unrolled: 12-line block ×3, first 2 shown]
	s_waitcnt vmcnt(1) lgkmcnt(0)
	v_mul_f64 v[6:7], v[14:15], v[4:5]
	v_fmac_f64_e32 v[6:7], v[12:13], v[2:3]
	v_mul_f64 v[2:3], v[14:15], v[2:3]
	v_fma_f64 v[2:3], v[12:13], v[4:5], -v[2:3]
	v_mul_f64 v[8:9], v[2:3], s[2:3]
	ds_read_b128 v[2:5], v244 offset:34560
	v_accvgpr_read_b32 v12, a102
	v_mul_f64 v[6:7], v[6:7], s[2:3]
	v_accvgpr_read_b32 v14, a104
	v_accvgpr_read_b32 v15, a105
	global_store_dwordx4 v[10:11], v[6:9], off
	v_accvgpr_read_b32 v13, a103
	v_mad_u64_u32 v[10:11], s[6:7], s0, v168, v[10:11]
	s_waitcnt lgkmcnt(0)
	v_mul_f64 v[6:7], v[14:15], v[4:5]
	v_fmac_f64_e32 v[6:7], v[12:13], v[2:3]
	v_mul_f64 v[2:3], v[14:15], v[2:3]
	v_fma_f64 v[2:3], v[12:13], v[4:5], -v[2:3]
	v_mul_f64 v[8:9], v[2:3], s[2:3]
	ds_read_b128 v[2:5], v244 offset:40320
	v_accvgpr_read_b32 v12, a114
	v_mul_f64 v[6:7], v[6:7], s[2:3]
	v_add_u32_e32 v11, s4, v11
	v_accvgpr_read_b32 v14, a116
	v_accvgpr_read_b32 v15, a117
	global_store_dwordx4 v[10:11], v[6:9], off
	v_accvgpr_read_b32 v13, a115
	v_mad_u64_u32 v[10:11], s[6:7], s0, v168, v[10:11]
	s_waitcnt lgkmcnt(0)
	v_mul_f64 v[6:7], v[14:15], v[4:5]
	v_fmac_f64_e32 v[6:7], v[12:13], v[2:3]
	v_mul_f64 v[2:3], v[14:15], v[2:3]
	v_fma_f64 v[2:3], v[12:13], v[4:5], -v[2:3]
	v_mul_f64 v[8:9], v[2:3], s[2:3]
	ds_read_b128 v[2:5], v244 offset:46080
	v_accvgpr_read_b32 v12, a118
	v_mul_f64 v[6:7], v[6:7], s[2:3]
	v_add_u32_e32 v11, s4, v11
	;; [unrolled: 15-line block ×3, first 2 shown]
	v_accvgpr_read_b32 v14, a124
	v_accvgpr_read_b32 v15, a125
	global_store_dwordx4 v[10:11], v[6:9], off
	v_accvgpr_read_b32 v13, a123
	s_waitcnt lgkmcnt(0)
	v_mul_f64 v[6:7], v[14:15], v[4:5]
	v_fmac_f64_e32 v[6:7], v[12:13], v[2:3]
	v_mul_f64 v[2:3], v[14:15], v[2:3]
	v_fma_f64 v[2:3], v[12:13], v[4:5], -v[2:3]
	v_mul_f64 v[8:9], v[2:3], s[2:3]
	v_mad_u64_u32 v[2:3], s[6:7], s0, v168, v[10:11]
	scratch_load_dwordx4 v[10:13], off, off offset:52 ; 16-byte Folded Reload
	v_mul_f64 v[6:7], v[6:7], s[2:3]
	v_add_u32_e32 v3, s4, v3
	global_store_dwordx4 v[2:3], v[6:9], off
	ds_read_b128 v[4:7], v244 offset:1920
	v_mov_b32_e32 v14, 0xffff3d00
	s_waitcnt vmcnt(1) lgkmcnt(0)
	v_mul_f64 v[8:9], v[12:13], v[6:7]
	v_fmac_f64_e32 v[8:9], v[10:11], v[4:5]
	v_mul_f64 v[4:5], v[12:13], v[4:5]
	v_fma_f64 v[4:5], v[10:11], v[6:7], -v[4:5]
	v_mad_u64_u32 v[12:13], s[6:7], s0, v14, v[2:3]
	v_mul_f64 v[8:9], v[8:9], s[2:3]
	v_mul_f64 v[10:11], v[4:5], s[2:3]
	v_add_u32_e32 v13, s5, v13
	global_store_dwordx4 v[12:13], v[8:11], off
	scratch_load_dwordx4 v[8:11], off, off offset:68 ; 16-byte Folded Reload
	ds_read_b128 v[2:5], v244 offset:7680
	s_waitcnt vmcnt(0) lgkmcnt(0)
	v_mul_f64 v[6:7], v[10:11], v[4:5]
	v_fmac_f64_e32 v[6:7], v[8:9], v[2:3]
	v_mul_f64 v[2:3], v[10:11], v[2:3]
	v_fma_f64 v[2:3], v[8:9], v[4:5], -v[2:3]
	v_mul_f64 v[8:9], v[2:3], s[2:3]
	ds_read_b128 v[2:5], v244 offset:13440
	v_mad_u64_u32 v[10:11], s[6:7], s0, v168, v[12:13]
	v_mul_f64 v[6:7], v[6:7], s[2:3]
	v_add_u32_e32 v11, s4, v11
	global_store_dwordx4 v[10:11], v[6:9], off
	v_mad_u64_u32 v[10:11], s[6:7], s0, v168, v[10:11]
	s_waitcnt lgkmcnt(0)
	v_mul_f64 v[6:7], v[18:19], v[4:5]
	v_fmac_f64_e32 v[6:7], v[16:17], v[2:3]
	v_mul_f64 v[2:3], v[18:19], v[2:3]
	v_fma_f64 v[2:3], v[16:17], v[4:5], -v[2:3]
	scratch_load_dwordx4 v[16:19], off, off offset:212 ; 16-byte Folded Reload
	v_mul_f64 v[8:9], v[2:3], s[2:3]
	ds_read_b128 v[2:5], v244 offset:19200
	v_mul_f64 v[6:7], v[6:7], s[2:3]
	v_add_u32_e32 v11, s4, v11
	global_store_dwordx4 v[10:11], v[6:9], off
	v_mad_u64_u32 v[10:11], s[6:7], s0, v168, v[10:11]
	v_add_u32_e32 v11, s4, v11
	s_waitcnt vmcnt(1) lgkmcnt(0)
	v_mul_f64 v[6:7], v[18:19], v[4:5]
	v_fmac_f64_e32 v[6:7], v[16:17], v[2:3]
	v_mul_f64 v[2:3], v[18:19], v[2:3]
	v_fma_f64 v[2:3], v[16:17], v[4:5], -v[2:3]
	scratch_load_dwordx4 v[16:19], off, off offset:228 ; 16-byte Folded Reload
	v_mul_f64 v[8:9], v[2:3], s[2:3]
	ds_read_b128 v[2:5], v244 offset:24960
	v_mul_f64 v[6:7], v[6:7], s[2:3]
	global_store_dwordx4 v[10:11], v[6:9], off
	v_mad_u64_u32 v[10:11], s[6:7], s0, v168, v[10:11]
	v_add_u32_e32 v11, s4, v11
	s_waitcnt vmcnt(1) lgkmcnt(0)
	v_mul_f64 v[6:7], v[18:19], v[4:5]
	v_fmac_f64_e32 v[6:7], v[16:17], v[2:3]
	v_mul_f64 v[2:3], v[18:19], v[2:3]
	v_fma_f64 v[2:3], v[16:17], v[4:5], -v[2:3]
	scratch_load_dwordx4 v[16:19], off, off offset:260 ; 16-byte Folded Reload
	v_mul_f64 v[8:9], v[2:3], s[2:3]
	ds_read_b128 v[2:5], v244 offset:30720
	v_mul_f64 v[6:7], v[6:7], s[2:3]
	global_store_dwordx4 v[10:11], v[6:9], off
	s_waitcnt vmcnt(1) lgkmcnt(0)
	s_nop 0
	v_mul_f64 v[6:7], v[18:19], v[4:5]
	v_fmac_f64_e32 v[6:7], v[16:17], v[2:3]
	v_mul_f64 v[2:3], v[18:19], v[2:3]
	v_fma_f64 v[2:3], v[16:17], v[4:5], -v[2:3]
	scratch_load_dword v5, off, off offset:16 ; 4-byte Folded Reload
	v_mul_f64 v[8:9], v[2:3], s[2:3]
	v_mul_f64 v[6:7], v[6:7], s[2:3]
	s_waitcnt vmcnt(0)
	v_mad_u64_u32 v[2:3], s[6:7], s0, v5, 0
	v_mov_b32_e32 v4, v3
	v_mad_u64_u32 v[4:5], s[6:7], s1, v5, v[4:5]
	v_mov_b32_e32 v3, v4
	v_lshl_add_u64 v[0:1], v[2:3], 4, v[0:1]
	global_store_dwordx4 v[0:1], v[6:9], off
	scratch_load_dwordx4 v[6:9], off, off offset:196 ; 16-byte Folded Reload
	ds_read_b128 v[0:3], v244 offset:36480
	s_mulk_i32 s1, 0x2d00
	s_waitcnt vmcnt(0) lgkmcnt(0)
	v_mul_f64 v[4:5], v[8:9], v[2:3]
	v_fmac_f64_e32 v[4:5], v[6:7], v[0:1]
	v_mul_f64 v[0:1], v[8:9], v[0:1]
	v_fma_f64 v[0:1], v[6:7], v[2:3], -v[0:1]
	v_mul_f64 v[6:7], v[0:1], s[2:3]
	v_mov_b32_e32 v0, 0x2d00
	v_mad_u64_u32 v[8:9], s[6:7], s0, v0, v[10:11]
	scratch_load_dwordx4 v[10:13], off, off offset:148 ; 16-byte Folded Reload
	ds_read_b128 v[0:3], v244 offset:42240
	v_mul_f64 v[4:5], v[4:5], s[2:3]
	v_add_u32_e32 v9, s1, v9
	global_store_dwordx4 v[8:9], v[4:7], off
	v_mad_u64_u32 v[8:9], s[6:7], s0, v168, v[8:9]
	v_add_u32_e32 v9, s4, v9
	s_waitcnt vmcnt(1) lgkmcnt(0)
	v_mul_f64 v[4:5], v[12:13], v[2:3]
	v_fmac_f64_e32 v[4:5], v[10:11], v[0:1]
	v_mul_f64 v[0:1], v[12:13], v[0:1]
	v_fma_f64 v[0:1], v[10:11], v[2:3], -v[0:1]
	scratch_load_dwordx4 v[10:13], off, off offset:132 ; 16-byte Folded Reload
	v_mul_f64 v[6:7], v[0:1], s[2:3]
	ds_read_b128 v[0:3], v244 offset:48000
	v_mul_f64 v[4:5], v[4:5], s[2:3]
	global_store_dwordx4 v[8:9], v[4:7], off
	v_mad_u64_u32 v[8:9], s[6:7], s0, v168, v[8:9]
	v_add_u32_e32 v9, s4, v9
	s_waitcnt vmcnt(1) lgkmcnt(0)
	v_mul_f64 v[4:5], v[12:13], v[2:3]
	v_fmac_f64_e32 v[4:5], v[10:11], v[0:1]
	v_mul_f64 v[0:1], v[12:13], v[0:1]
	v_fma_f64 v[0:1], v[10:11], v[2:3], -v[0:1]
	scratch_load_dwordx4 v[10:13], off, off offset:164 ; 16-byte Folded Reload
	v_mul_f64 v[6:7], v[0:1], s[2:3]
	ds_read_b128 v[0:3], v244 offset:53760
	v_mul_f64 v[4:5], v[4:5], s[2:3]
	global_store_dwordx4 v[8:9], v[4:7], off
	s_waitcnt vmcnt(1) lgkmcnt(0)
	s_nop 0
	v_mul_f64 v[4:5], v[12:13], v[2:3]
	v_fmac_f64_e32 v[4:5], v[10:11], v[0:1]
	v_mul_f64 v[0:1], v[12:13], v[0:1]
	v_fma_f64 v[0:1], v[10:11], v[2:3], -v[0:1]
	v_mul_f64 v[6:7], v[0:1], s[2:3]
	v_mad_u64_u32 v[0:1], s[6:7], s0, v168, v[8:9]
	scratch_load_dwordx4 v[8:11], off, off  ; 16-byte Folded Reload
	v_mul_f64 v[4:5], v[4:5], s[2:3]
	v_add_u32_e32 v1, s4, v1
	global_store_dwordx4 v[0:1], v[4:7], off
	ds_read_b128 v[2:5], v244 offset:3840
	s_waitcnt vmcnt(1) lgkmcnt(0)
	v_mul_f64 v[6:7], v[10:11], v[4:5]
	v_fmac_f64_e32 v[6:7], v[8:9], v[2:3]
	v_mul_f64 v[2:3], v[10:11], v[2:3]
	v_fma_f64 v[2:3], v[8:9], v[4:5], -v[2:3]
	v_mul_f64 v[8:9], v[2:3], s[2:3]
	v_mad_u64_u32 v[10:11], s[6:7], s0, v14, v[0:1]
	ds_read_b128 v[0:3], v244 offset:9600
	v_mul_f64 v[6:7], v[6:7], s[2:3]
	v_add_u32_e32 v11, s5, v11
	global_store_dwordx4 v[10:11], v[6:9], off
	s_nop 1
	v_accvgpr_read_b32 v6, a106
	v_accvgpr_read_b32 v8, a108
	;; [unrolled: 1-line block ×4, first 2 shown]
	s_waitcnt lgkmcnt(0)
	v_mul_f64 v[4:5], v[8:9], v[2:3]
	v_fmac_f64_e32 v[4:5], v[6:7], v[0:1]
	v_mul_f64 v[0:1], v[8:9], v[0:1]
	v_mad_u64_u32 v[8:9], s[6:7], s0, v168, v[10:11]
	scratch_load_dwordx4 v[10:13], off, off offset:244 ; 16-byte Folded Reload
	v_fma_f64 v[0:1], v[6:7], v[2:3], -v[0:1]
	v_mul_f64 v[6:7], v[0:1], s[2:3]
	ds_read_b128 v[0:3], v244 offset:15360
	v_mul_f64 v[4:5], v[4:5], s[2:3]
	v_add_u32_e32 v9, s4, v9
	global_store_dwordx4 v[8:9], v[4:7], off
	v_mad_u64_u32 v[8:9], s[6:7], s0, v168, v[8:9]
	v_add_u32_e32 v9, s4, v9
	s_waitcnt vmcnt(1) lgkmcnt(0)
	v_mul_f64 v[4:5], v[12:13], v[2:3]
	v_fmac_f64_e32 v[4:5], v[10:11], v[0:1]
	v_mul_f64 v[0:1], v[12:13], v[0:1]
	v_fma_f64 v[0:1], v[10:11], v[2:3], -v[0:1]
	scratch_load_dwordx4 v[10:13], off, off offset:372 ; 16-byte Folded Reload
	v_mul_f64 v[6:7], v[0:1], s[2:3]
	ds_read_b128 v[0:3], v244 offset:21120
	v_mul_f64 v[4:5], v[4:5], s[2:3]
	global_store_dwordx4 v[8:9], v[4:7], off
	v_mad_u64_u32 v[8:9], s[6:7], s0, v168, v[8:9]
	v_add_u32_e32 v9, s4, v9
	s_waitcnt vmcnt(1) lgkmcnt(0)
	v_mul_f64 v[4:5], v[12:13], v[2:3]
	v_fmac_f64_e32 v[4:5], v[10:11], v[0:1]
	v_mul_f64 v[0:1], v[12:13], v[0:1]
	v_fma_f64 v[0:1], v[10:11], v[2:3], -v[0:1]
	scratch_load_dwordx4 v[10:13], off, off offset:180 ; 16-byte Folded Reload
	v_mul_f64 v[6:7], v[0:1], s[2:3]
	ds_read_b128 v[0:3], v244 offset:26880
	v_mul_f64 v[4:5], v[4:5], s[2:3]
	;; [unrolled: 12-line block ×6, first 2 shown]
	global_store_dwordx4 v[8:9], v[4:7], off
	v_mad_u64_u32 v[8:9], s[6:7], s0, v168, v[8:9]
	v_add_u32_e32 v9, s4, v9
	s_waitcnt vmcnt(1) lgkmcnt(0)
	v_mul_f64 v[4:5], v[12:13], v[2:3]
	v_fmac_f64_e32 v[4:5], v[10:11], v[0:1]
	v_mul_f64 v[0:1], v[12:13], v[0:1]
	v_fma_f64 v[0:1], v[10:11], v[2:3], -v[0:1]
	v_mul_f64 v[6:7], v[0:1], s[2:3]
	ds_read_b128 v[0:3], v244 offset:55680
	v_accvgpr_read_b32 v10, a110
	v_mul_f64 v[4:5], v[4:5], s[2:3]
	v_accvgpr_read_b32 v12, a112
	v_accvgpr_read_b32 v13, a113
	global_store_dwordx4 v[8:9], v[4:7], off
	v_accvgpr_read_b32 v11, a111
	s_waitcnt lgkmcnt(0)
	v_mul_f64 v[4:5], v[12:13], v[2:3]
	v_fmac_f64_e32 v[4:5], v[10:11], v[0:1]
	v_mul_f64 v[0:1], v[12:13], v[0:1]
	v_fma_f64 v[0:1], v[10:11], v[2:3], -v[0:1]
	v_mul_f64 v[6:7], v[0:1], s[2:3]
	v_mad_u64_u32 v[0:1], s[0:1], s0, v168, v[8:9]
	v_mul_f64 v[4:5], v[4:5], s[2:3]
	v_add_u32_e32 v1, s4, v1
	global_store_dwordx4 v[0:1], v[4:7], off
.LBB0_2:
	s_endpgm
	.section	.rodata,"a",@progbits
	.p2align	6, 0x0
	.amdhsa_kernel bluestein_single_back_len3600_dim1_dp_op_CI_CI
		.amdhsa_group_segment_fixed_size 57600
		.amdhsa_private_segment_fixed_size 392
		.amdhsa_kernarg_size 104
		.amdhsa_user_sgpr_count 2
		.amdhsa_user_sgpr_dispatch_ptr 0
		.amdhsa_user_sgpr_queue_ptr 0
		.amdhsa_user_sgpr_kernarg_segment_ptr 1
		.amdhsa_user_sgpr_dispatch_id 0
		.amdhsa_user_sgpr_kernarg_preload_length 0
		.amdhsa_user_sgpr_kernarg_preload_offset 0
		.amdhsa_user_sgpr_private_segment_size 0
		.amdhsa_uses_dynamic_stack 0
		.amdhsa_enable_private_segment 1
		.amdhsa_system_sgpr_workgroup_id_x 1
		.amdhsa_system_sgpr_workgroup_id_y 0
		.amdhsa_system_sgpr_workgroup_id_z 0
		.amdhsa_system_sgpr_workgroup_info 0
		.amdhsa_system_vgpr_workitem_id 0
		.amdhsa_next_free_vgpr 512
		.amdhsa_next_free_sgpr 40
		.amdhsa_accum_offset 256
		.amdhsa_reserve_vcc 1
		.amdhsa_float_round_mode_32 0
		.amdhsa_float_round_mode_16_64 0
		.amdhsa_float_denorm_mode_32 3
		.amdhsa_float_denorm_mode_16_64 3
		.amdhsa_dx10_clamp 1
		.amdhsa_ieee_mode 1
		.amdhsa_fp16_overflow 0
		.amdhsa_tg_split 0
		.amdhsa_exception_fp_ieee_invalid_op 0
		.amdhsa_exception_fp_denorm_src 0
		.amdhsa_exception_fp_ieee_div_zero 0
		.amdhsa_exception_fp_ieee_overflow 0
		.amdhsa_exception_fp_ieee_underflow 0
		.amdhsa_exception_fp_ieee_inexact 0
		.amdhsa_exception_int_div_zero 0
	.end_amdhsa_kernel
	.text
.Lfunc_end0:
	.size	bluestein_single_back_len3600_dim1_dp_op_CI_CI, .Lfunc_end0-bluestein_single_back_len3600_dim1_dp_op_CI_CI
                                        ; -- End function
	.section	.AMDGPU.csdata,"",@progbits
; Kernel info:
; codeLenInByte = 40080
; NumSgprs: 46
; NumVgprs: 256
; NumAgprs: 256
; TotalNumVgprs: 512
; ScratchSize: 392
; MemoryBound: 0
; FloatMode: 240
; IeeeMode: 1
; LDSByteSize: 57600 bytes/workgroup (compile time only)
; SGPRBlocks: 5
; VGPRBlocks: 63
; NumSGPRsForWavesPerEU: 46
; NumVGPRsForWavesPerEU: 512
; AccumOffset: 256
; Occupancy: 1
; WaveLimiterHint : 1
; COMPUTE_PGM_RSRC2:SCRATCH_EN: 1
; COMPUTE_PGM_RSRC2:USER_SGPR: 2
; COMPUTE_PGM_RSRC2:TRAP_HANDLER: 0
; COMPUTE_PGM_RSRC2:TGID_X_EN: 1
; COMPUTE_PGM_RSRC2:TGID_Y_EN: 0
; COMPUTE_PGM_RSRC2:TGID_Z_EN: 0
; COMPUTE_PGM_RSRC2:TIDIG_COMP_CNT: 0
; COMPUTE_PGM_RSRC3_GFX90A:ACCUM_OFFSET: 63
; COMPUTE_PGM_RSRC3_GFX90A:TG_SPLIT: 0
	.text
	.p2alignl 6, 3212836864
	.fill 256, 4, 3212836864
	.type	__hip_cuid_a660f1d4dece89c9,@object ; @__hip_cuid_a660f1d4dece89c9
	.section	.bss,"aw",@nobits
	.globl	__hip_cuid_a660f1d4dece89c9
__hip_cuid_a660f1d4dece89c9:
	.byte	0                               ; 0x0
	.size	__hip_cuid_a660f1d4dece89c9, 1

	.ident	"AMD clang version 19.0.0git (https://github.com/RadeonOpenCompute/llvm-project roc-6.4.0 25133 c7fe45cf4b819c5991fe208aaa96edf142730f1d)"
	.section	".note.GNU-stack","",@progbits
	.addrsig
	.addrsig_sym __hip_cuid_a660f1d4dece89c9
	.amdgpu_metadata
---
amdhsa.kernels:
  - .agpr_count:     256
    .args:
      - .actual_access:  read_only
        .address_space:  global
        .offset:         0
        .size:           8
        .value_kind:     global_buffer
      - .actual_access:  read_only
        .address_space:  global
        .offset:         8
        .size:           8
        .value_kind:     global_buffer
      - .actual_access:  read_only
        .address_space:  global
        .offset:         16
        .size:           8
        .value_kind:     global_buffer
      - .actual_access:  read_only
        .address_space:  global
        .offset:         24
        .size:           8
        .value_kind:     global_buffer
      - .actual_access:  read_only
        .address_space:  global
        .offset:         32
        .size:           8
        .value_kind:     global_buffer
      - .offset:         40
        .size:           8
        .value_kind:     by_value
      - .address_space:  global
        .offset:         48
        .size:           8
        .value_kind:     global_buffer
      - .address_space:  global
        .offset:         56
        .size:           8
        .value_kind:     global_buffer
      - .address_space:  global
        .offset:         64
        .size:           8
        .value_kind:     global_buffer
      - .address_space:  global
        .offset:         72
        .size:           8
        .value_kind:     global_buffer
      - .offset:         80
        .size:           4
        .value_kind:     by_value
      - .address_space:  global
        .offset:         88
        .size:           8
        .value_kind:     global_buffer
      - .address_space:  global
        .offset:         96
        .size:           8
        .value_kind:     global_buffer
    .group_segment_fixed_size: 57600
    .kernarg_segment_align: 8
    .kernarg_segment_size: 104
    .language:       OpenCL C
    .language_version:
      - 2
      - 0
    .max_flat_workgroup_size: 120
    .name:           bluestein_single_back_len3600_dim1_dp_op_CI_CI
    .private_segment_fixed_size: 392
    .sgpr_count:     46
    .sgpr_spill_count: 0
    .symbol:         bluestein_single_back_len3600_dim1_dp_op_CI_CI.kd
    .uniform_work_group_size: 1
    .uses_dynamic_stack: false
    .vgpr_count:     512
    .vgpr_spill_count: 99
    .wavefront_size: 64
amdhsa.target:   amdgcn-amd-amdhsa--gfx950
amdhsa.version:
  - 1
  - 2
...

	.end_amdgpu_metadata
